;; amdgpu-corpus repo=ROCm/rocFFT kind=compiled arch=gfx1030 opt=O3
	.text
	.amdgcn_target "amdgcn-amd-amdhsa--gfx1030"
	.amdhsa_code_object_version 6
	.protected	fft_rtc_back_len1904_factors_17_2_2_7_4_wgs_119_tpt_119_halfLds_dp_ip_CI_unitstride_sbrr_C2R_dirReg ; -- Begin function fft_rtc_back_len1904_factors_17_2_2_7_4_wgs_119_tpt_119_halfLds_dp_ip_CI_unitstride_sbrr_C2R_dirReg
	.globl	fft_rtc_back_len1904_factors_17_2_2_7_4_wgs_119_tpt_119_halfLds_dp_ip_CI_unitstride_sbrr_C2R_dirReg
	.p2align	8
	.type	fft_rtc_back_len1904_factors_17_2_2_7_4_wgs_119_tpt_119_halfLds_dp_ip_CI_unitstride_sbrr_C2R_dirReg,@function
fft_rtc_back_len1904_factors_17_2_2_7_4_wgs_119_tpt_119_halfLds_dp_ip_CI_unitstride_sbrr_C2R_dirReg: ; @fft_rtc_back_len1904_factors_17_2_2_7_4_wgs_119_tpt_119_halfLds_dp_ip_CI_unitstride_sbrr_C2R_dirReg
; %bb.0:
	s_clause 0x2
	s_load_dwordx4 s[8:11], s[4:5], 0x0
	s_load_dwordx2 s[2:3], s[4:5], 0x50
	s_load_dwordx2 s[12:13], s[4:5], 0x18
	v_mul_u32_u24_e32 v1, 0x227, v0
	v_mov_b32_e32 v3, 0
	v_add_nc_u32_sdwa v5, s6, v1 dst_sel:DWORD dst_unused:UNUSED_PAD src0_sel:DWORD src1_sel:WORD_1
	v_mov_b32_e32 v1, 0
	v_mov_b32_e32 v6, v3
	v_mov_b32_e32 v2, 0
	s_waitcnt lgkmcnt(0)
	v_cmp_lt_u64_e64 s0, s[10:11], 2
	s_and_b32 vcc_lo, exec_lo, s0
	s_cbranch_vccnz .LBB0_8
; %bb.1:
	s_load_dwordx2 s[0:1], s[4:5], 0x10
	v_mov_b32_e32 v1, 0
	s_add_u32 s6, s12, 8
	v_mov_b32_e32 v2, 0
	s_addc_u32 s7, s13, 0
	s_mov_b64 s[16:17], 1
	s_waitcnt lgkmcnt(0)
	s_add_u32 s14, s0, 8
	s_addc_u32 s15, s1, 0
.LBB0_2:                                ; =>This Inner Loop Header: Depth=1
	s_load_dwordx2 s[18:19], s[14:15], 0x0
                                        ; implicit-def: $vgpr7_vgpr8
	s_mov_b32 s0, exec_lo
	s_waitcnt lgkmcnt(0)
	v_or_b32_e32 v4, s19, v6
	v_cmpx_ne_u64_e32 0, v[3:4]
	s_xor_b32 s1, exec_lo, s0
	s_cbranch_execz .LBB0_4
; %bb.3:                                ;   in Loop: Header=BB0_2 Depth=1
	v_cvt_f32_u32_e32 v4, s18
	v_cvt_f32_u32_e32 v7, s19
	s_sub_u32 s0, 0, s18
	s_subb_u32 s20, 0, s19
	v_fmac_f32_e32 v4, 0x4f800000, v7
	v_rcp_f32_e32 v4, v4
	v_mul_f32_e32 v4, 0x5f7ffffc, v4
	v_mul_f32_e32 v7, 0x2f800000, v4
	v_trunc_f32_e32 v7, v7
	v_fmac_f32_e32 v4, 0xcf800000, v7
	v_cvt_u32_f32_e32 v7, v7
	v_cvt_u32_f32_e32 v4, v4
	v_mul_lo_u32 v8, s0, v7
	v_mul_hi_u32 v9, s0, v4
	v_mul_lo_u32 v10, s20, v4
	v_add_nc_u32_e32 v8, v9, v8
	v_mul_lo_u32 v9, s0, v4
	v_add_nc_u32_e32 v8, v8, v10
	v_mul_hi_u32 v10, v4, v9
	v_mul_lo_u32 v11, v4, v8
	v_mul_hi_u32 v12, v4, v8
	v_mul_hi_u32 v13, v7, v9
	v_mul_lo_u32 v9, v7, v9
	v_mul_hi_u32 v14, v7, v8
	v_mul_lo_u32 v8, v7, v8
	v_add_co_u32 v10, vcc_lo, v10, v11
	v_add_co_ci_u32_e32 v11, vcc_lo, 0, v12, vcc_lo
	v_add_co_u32 v9, vcc_lo, v10, v9
	v_add_co_ci_u32_e32 v9, vcc_lo, v11, v13, vcc_lo
	v_add_co_ci_u32_e32 v10, vcc_lo, 0, v14, vcc_lo
	v_add_co_u32 v8, vcc_lo, v9, v8
	v_add_co_ci_u32_e32 v9, vcc_lo, 0, v10, vcc_lo
	v_add_co_u32 v4, vcc_lo, v4, v8
	v_add_co_ci_u32_e32 v7, vcc_lo, v7, v9, vcc_lo
	v_mul_hi_u32 v8, s0, v4
	v_mul_lo_u32 v10, s20, v4
	v_mul_lo_u32 v9, s0, v7
	v_add_nc_u32_e32 v8, v8, v9
	v_mul_lo_u32 v9, s0, v4
	v_add_nc_u32_e32 v8, v8, v10
	v_mul_hi_u32 v10, v4, v9
	v_mul_lo_u32 v11, v4, v8
	v_mul_hi_u32 v12, v4, v8
	v_mul_hi_u32 v13, v7, v9
	v_mul_lo_u32 v9, v7, v9
	v_mul_hi_u32 v14, v7, v8
	v_mul_lo_u32 v8, v7, v8
	v_add_co_u32 v10, vcc_lo, v10, v11
	v_add_co_ci_u32_e32 v11, vcc_lo, 0, v12, vcc_lo
	v_add_co_u32 v9, vcc_lo, v10, v9
	v_add_co_ci_u32_e32 v9, vcc_lo, v11, v13, vcc_lo
	v_add_co_ci_u32_e32 v10, vcc_lo, 0, v14, vcc_lo
	v_add_co_u32 v8, vcc_lo, v9, v8
	v_add_co_ci_u32_e32 v9, vcc_lo, 0, v10, vcc_lo
	v_add_co_u32 v4, vcc_lo, v4, v8
	v_add_co_ci_u32_e32 v11, vcc_lo, v7, v9, vcc_lo
	v_mul_hi_u32 v13, v5, v4
	v_mad_u64_u32 v[9:10], null, v6, v4, 0
	v_mad_u64_u32 v[7:8], null, v5, v11, 0
	;; [unrolled: 1-line block ×3, first 2 shown]
	v_add_co_u32 v4, vcc_lo, v13, v7
	v_add_co_ci_u32_e32 v7, vcc_lo, 0, v8, vcc_lo
	v_add_co_u32 v4, vcc_lo, v4, v9
	v_add_co_ci_u32_e32 v4, vcc_lo, v7, v10, vcc_lo
	v_add_co_ci_u32_e32 v7, vcc_lo, 0, v12, vcc_lo
	v_add_co_u32 v4, vcc_lo, v4, v11
	v_add_co_ci_u32_e32 v9, vcc_lo, 0, v7, vcc_lo
	v_mul_lo_u32 v10, s19, v4
	v_mad_u64_u32 v[7:8], null, s18, v4, 0
	v_mul_lo_u32 v11, s18, v9
	v_sub_co_u32 v7, vcc_lo, v5, v7
	v_add3_u32 v8, v8, v11, v10
	v_sub_nc_u32_e32 v10, v6, v8
	v_subrev_co_ci_u32_e64 v10, s0, s19, v10, vcc_lo
	v_add_co_u32 v11, s0, v4, 2
	v_add_co_ci_u32_e64 v12, s0, 0, v9, s0
	v_sub_co_u32 v13, s0, v7, s18
	v_sub_co_ci_u32_e32 v8, vcc_lo, v6, v8, vcc_lo
	v_subrev_co_ci_u32_e64 v10, s0, 0, v10, s0
	v_cmp_le_u32_e32 vcc_lo, s18, v13
	v_cmp_eq_u32_e64 s0, s19, v8
	v_cndmask_b32_e64 v13, 0, -1, vcc_lo
	v_cmp_le_u32_e32 vcc_lo, s19, v10
	v_cndmask_b32_e64 v14, 0, -1, vcc_lo
	v_cmp_le_u32_e32 vcc_lo, s18, v7
	;; [unrolled: 2-line block ×3, first 2 shown]
	v_cndmask_b32_e64 v15, 0, -1, vcc_lo
	v_cmp_eq_u32_e32 vcc_lo, s19, v10
	v_cndmask_b32_e64 v7, v15, v7, s0
	v_cndmask_b32_e32 v10, v14, v13, vcc_lo
	v_add_co_u32 v13, vcc_lo, v4, 1
	v_add_co_ci_u32_e32 v14, vcc_lo, 0, v9, vcc_lo
	v_cmp_ne_u32_e32 vcc_lo, 0, v10
	v_cndmask_b32_e32 v8, v14, v12, vcc_lo
	v_cndmask_b32_e32 v10, v13, v11, vcc_lo
	v_cmp_ne_u32_e32 vcc_lo, 0, v7
	v_cndmask_b32_e32 v8, v9, v8, vcc_lo
	v_cndmask_b32_e32 v7, v4, v10, vcc_lo
.LBB0_4:                                ;   in Loop: Header=BB0_2 Depth=1
	s_andn2_saveexec_b32 s0, s1
	s_cbranch_execz .LBB0_6
; %bb.5:                                ;   in Loop: Header=BB0_2 Depth=1
	v_cvt_f32_u32_e32 v4, s18
	s_sub_i32 s1, 0, s18
	v_rcp_iflag_f32_e32 v4, v4
	v_mul_f32_e32 v4, 0x4f7ffffe, v4
	v_cvt_u32_f32_e32 v4, v4
	v_mul_lo_u32 v7, s1, v4
	v_mul_hi_u32 v7, v4, v7
	v_add_nc_u32_e32 v4, v4, v7
	v_mul_hi_u32 v4, v5, v4
	v_mul_lo_u32 v7, v4, s18
	v_add_nc_u32_e32 v8, 1, v4
	v_sub_nc_u32_e32 v7, v5, v7
	v_subrev_nc_u32_e32 v9, s18, v7
	v_cmp_le_u32_e32 vcc_lo, s18, v7
	v_cndmask_b32_e32 v7, v7, v9, vcc_lo
	v_cndmask_b32_e32 v4, v4, v8, vcc_lo
	v_cmp_le_u32_e32 vcc_lo, s18, v7
	v_add_nc_u32_e32 v8, 1, v4
	v_cndmask_b32_e32 v7, v4, v8, vcc_lo
	v_mov_b32_e32 v8, v3
.LBB0_6:                                ;   in Loop: Header=BB0_2 Depth=1
	s_or_b32 exec_lo, exec_lo, s0
	s_load_dwordx2 s[0:1], s[6:7], 0x0
	v_mul_lo_u32 v4, v8, s18
	v_mul_lo_u32 v11, v7, s19
	v_mad_u64_u32 v[9:10], null, v7, s18, 0
	s_add_u32 s16, s16, 1
	s_addc_u32 s17, s17, 0
	s_add_u32 s6, s6, 8
	s_addc_u32 s7, s7, 0
	;; [unrolled: 2-line block ×3, first 2 shown]
	v_add3_u32 v4, v10, v11, v4
	v_sub_co_u32 v5, vcc_lo, v5, v9
	v_sub_co_ci_u32_e32 v4, vcc_lo, v6, v4, vcc_lo
	s_waitcnt lgkmcnt(0)
	v_mul_lo_u32 v6, s1, v5
	v_mul_lo_u32 v4, s0, v4
	v_mad_u64_u32 v[1:2], null, s0, v5, v[1:2]
	v_cmp_ge_u64_e64 s0, s[16:17], s[10:11]
	s_and_b32 vcc_lo, exec_lo, s0
	v_add3_u32 v2, v6, v2, v4
	s_cbranch_vccnz .LBB0_9
; %bb.7:                                ;   in Loop: Header=BB0_2 Depth=1
	v_mov_b32_e32 v5, v7
	v_mov_b32_e32 v6, v8
	s_branch .LBB0_2
.LBB0_8:
	v_mov_b32_e32 v8, v6
	v_mov_b32_e32 v7, v5
.LBB0_9:
	s_lshl_b64 s[0:1], s[10:11], 3
	v_mul_hi_u32 v5, 0x226b903, v0
	s_add_u32 s0, s12, s0
	s_addc_u32 s1, s13, s1
	s_load_dwordx2 s[0:1], s[0:1], 0x0
	s_load_dwordx2 s[4:5], s[4:5], 0x20
	s_waitcnt lgkmcnt(0)
	v_mul_lo_u32 v3, s0, v8
	v_mul_lo_u32 v4, s1, v7
	v_mad_u64_u32 v[1:2], null, s0, v7, v[1:2]
	v_cmp_gt_u64_e32 vcc_lo, s[4:5], v[7:8]
	v_add3_u32 v2, v4, v2, v3
	v_mul_u32_u24_e32 v3, 0x77, v5
	v_lshlrev_b64 v[102:103], 4, v[1:2]
	v_sub_nc_u32_e32 v100, v0, v3
	s_and_saveexec_b32 s1, vcc_lo
	s_cbranch_execz .LBB0_13
; %bb.10:
	v_mov_b32_e32 v101, 0
	v_add_co_u32 v0, s0, s2, v102
	v_add_co_ci_u32_e64 v1, s0, s3, v103, s0
	v_lshlrev_b64 v[2:3], 4, v[100:101]
	v_lshl_add_u32 v66, v100, 4, 0
	s_mov_b32 s4, exec_lo
	v_add_co_u32 v10, s0, v0, v2
	v_add_co_ci_u32_e64 v11, s0, v1, v3, s0
	s_clause 0x1
	global_load_dwordx4 v[2:5], v[10:11], off
	global_load_dwordx4 v[6:9], v[10:11], off offset:1904
	v_add_co_u32 v12, s0, 0x800, v10
	v_add_co_ci_u32_e64 v13, s0, 0, v11, s0
	v_add_co_u32 v14, s0, 0x1000, v10
	v_add_co_ci_u32_e64 v15, s0, 0, v11, s0
	;; [unrolled: 2-line block ×13, first 2 shown]
	s_clause 0xd
	global_load_dwordx4 v[10:13], v[12:13], off offset:1760
	global_load_dwordx4 v[14:17], v[14:15], off offset:1616
	;; [unrolled: 1-line block ×14, first 2 shown]
	s_waitcnt vmcnt(15)
	ds_write_b128 v66, v[2:5]
	s_waitcnt vmcnt(14)
	ds_write_b128 v66, v[6:9] offset:1904
	s_waitcnt vmcnt(13)
	ds_write_b128 v66, v[10:13] offset:3808
	;; [unrolled: 2-line block ×15, first 2 shown]
	v_cmpx_eq_u32_e32 0x76, v100
	s_cbranch_execz .LBB0_12
; %bb.11:
	v_add_co_u32 v0, s0, 0x7000, v0
	v_add_co_ci_u32_e64 v1, s0, 0, v1, s0
	v_mov_b32_e32 v100, 0x76
	global_load_dwordx4 v[0:3], v[0:1], off offset:1792
	s_waitcnt vmcnt(0)
	ds_write_b128 v101, v[0:3] offset:30464
.LBB0_12:
	s_or_b32 exec_lo, exec_lo, s4
.LBB0_13:
	s_or_b32 exec_lo, exec_lo, s1
	v_lshlrev_b32_e32 v0, 4, v100
	s_waitcnt lgkmcnt(0)
	s_barrier
	buffer_gl0_inv
	s_add_u32 s1, s8, 0x75f0
	v_add_nc_u32_e32 v172, 0, v0
	v_sub_nc_u32_e32 v10, 0, v0
	s_addc_u32 s4, s9, 0
	s_mov_b32 s5, exec_lo
                                        ; implicit-def: $vgpr4_vgpr5
	ds_read_b64 v[6:7], v172
	ds_read_b64 v[8:9], v10 offset:30464
	s_waitcnt lgkmcnt(0)
	v_add_f64 v[0:1], v[6:7], v[8:9]
	v_add_f64 v[2:3], v[6:7], -v[8:9]
	v_cmpx_ne_u32_e32 0, v100
	s_xor_b32 s5, exec_lo, s5
	s_cbranch_execz .LBB0_15
; %bb.14:
	v_mov_b32_e32 v101, 0
	v_add_f64 v[13:14], v[6:7], v[8:9]
	v_add_f64 v[15:16], v[6:7], -v[8:9]
	v_lshlrev_b64 v[0:1], 4, v[100:101]
	v_add_co_u32 v0, s0, s1, v0
	v_add_co_ci_u32_e64 v1, s0, s4, v1, s0
	global_load_dwordx4 v[2:5], v[0:1], off
	ds_read_b64 v[0:1], v10 offset:30472
	ds_read_b64 v[11:12], v172 offset:8
	s_waitcnt lgkmcnt(0)
	v_add_f64 v[6:7], v[0:1], v[11:12]
	v_add_f64 v[0:1], v[11:12], -v[0:1]
	s_waitcnt vmcnt(0)
	v_fma_f64 v[8:9], v[15:16], v[4:5], v[13:14]
	v_fma_f64 v[11:12], -v[15:16], v[4:5], v[13:14]
	v_fma_f64 v[13:14], v[6:7], v[4:5], -v[0:1]
	v_fma_f64 v[4:5], v[6:7], v[4:5], v[0:1]
	v_fma_f64 v[0:1], -v[6:7], v[2:3], v[8:9]
	v_fma_f64 v[6:7], v[6:7], v[2:3], v[11:12]
	v_fma_f64 v[8:9], v[15:16], v[2:3], v[13:14]
	;; [unrolled: 1-line block ×3, first 2 shown]
	v_mov_b32_e32 v4, v100
	v_mov_b32_e32 v5, v101
	ds_write_b128 v10, v[6:9] offset:30464
.LBB0_15:
	s_andn2_saveexec_b32 s0, s5
	s_cbranch_execz .LBB0_17
; %bb.16:
	v_mov_b32_e32 v8, 0
	ds_read_b128 v[4:7], v8 offset:15232
	s_waitcnt lgkmcnt(0)
	v_add_f64 v[11:12], v[4:5], v[4:5]
	v_mul_f64 v[13:14], v[6:7], -2.0
	v_mov_b32_e32 v4, 0
	v_mov_b32_e32 v5, 0
	ds_write_b128 v8, v[11:14] offset:15232
.LBB0_17:
	s_or_b32 exec_lo, exec_lo, s0
	v_lshlrev_b64 v[4:5], 4, v[4:5]
	ds_write_b128 v172, v[0:3]
	s_mov_b32 s12, 0x5d8e7cdc
	s_mov_b32 s13, 0xbfd71e95
	;; [unrolled: 1-line block ×4, first 2 shown]
	v_add_co_u32 v27, s0, s1, v4
	v_add_co_ci_u32_e64 v28, s0, s4, v5, s0
	s_mov_b32 s4, 0x370991
	v_add_co_u32 v8, s0, 0x800, v27
	global_load_dwordx4 v[4:7], v[27:28], off offset:1904
	v_add_co_ci_u32_e64 v9, s0, 0, v28, s0
	s_mov_b32 s5, 0x3fedd6d0
	s_mov_b32 s7, 0x3fe7a5f6
	s_mov_b32 s25, 0xbfe58eea
	global_load_dwordx4 v[11:14], v[8:9], off offset:1760
	v_add_co_u32 v8, s0, 0x1000, v27
	v_add_co_ci_u32_e64 v9, s0, 0, v28, s0
	s_mov_b32 s10, 0x2b2883cd
	s_mov_b32 s28, 0x7c9e640b
	;; [unrolled: 1-line block ×3, first 2 shown]
	global_load_dwordx4 v[15:18], v[8:9], off offset:1616
	v_add_co_u32 v8, s0, 0x1800, v27
	v_add_co_ci_u32_e64 v9, s0, 0, v28, s0
	ds_read_b128 v[0:3], v172 offset:1904
	ds_read_b128 v[19:22], v10 offset:28560
	s_mov_b32 s29, 0xbfeca52d
	s_mov_b32 s14, 0x3259b75e
	global_load_dwordx4 v[23:26], v[8:9], off offset:1472
	s_mov_b32 s16, 0xeb564b22
	s_mov_b32 s15, 0x3fb79ee6
	;; [unrolled: 1-line block ×16, first 2 shown]
	s_waitcnt lgkmcnt(0)
	v_add_f64 v[8:9], v[0:1], v[19:20]
	v_add_f64 v[29:30], v[21:22], v[2:3]
	v_add_f64 v[19:20], v[0:1], -v[19:20]
	v_add_f64 v[0:1], v[2:3], -v[21:22]
	s_mov_b32 s38, 0xacd6c6b4
	s_mov_b32 s37, 0xbfef7484
	;; [unrolled: 1-line block ×3, first 2 shown]
	s_mov_b32 s33, exec_lo
	s_waitcnt vmcnt(3)
	v_fma_f64 v[2:3], v[19:20], v[6:7], v[8:9]
	v_fma_f64 v[21:22], v[29:30], v[6:7], v[0:1]
	v_fma_f64 v[8:9], -v[19:20], v[6:7], v[8:9]
	v_fma_f64 v[31:32], v[29:30], v[6:7], -v[0:1]
	v_fma_f64 v[0:1], -v[29:30], v[4:5], v[2:3]
	v_fma_f64 v[2:3], v[19:20], v[4:5], v[21:22]
	v_fma_f64 v[6:7], v[29:30], v[4:5], v[8:9]
	v_fma_f64 v[8:9], v[19:20], v[4:5], v[31:32]
	v_add_co_u32 v19, s0, 0x2000, v27
	v_add_co_ci_u32_e64 v20, s0, 0, v28, s0
	ds_write_b128 v172, v[0:3] offset:1904
	ds_write_b128 v10, v[6:9] offset:28560
	ds_read_b128 v[0:3], v172 offset:3808
	ds_read_b128 v[4:7], v10 offset:26656
	global_load_dwordx4 v[19:22], v[19:20], off offset:1328
	s_waitcnt lgkmcnt(0)
	v_add_f64 v[8:9], v[0:1], v[4:5]
	v_add_f64 v[29:30], v[6:7], v[2:3]
	v_add_f64 v[31:32], v[0:1], -v[4:5]
	v_add_f64 v[0:1], v[2:3], -v[6:7]
	s_waitcnt vmcnt(3)
	v_fma_f64 v[2:3], v[31:32], v[13:14], v[8:9]
	v_fma_f64 v[4:5], v[29:30], v[13:14], v[0:1]
	v_fma_f64 v[6:7], -v[31:32], v[13:14], v[8:9]
	v_fma_f64 v[8:9], v[29:30], v[13:14], -v[0:1]
	v_fma_f64 v[0:1], -v[29:30], v[11:12], v[2:3]
	v_fma_f64 v[2:3], v[31:32], v[11:12], v[4:5]
	v_fma_f64 v[4:5], v[29:30], v[11:12], v[6:7]
	v_fma_f64 v[6:7], v[31:32], v[11:12], v[8:9]
	v_add_co_u32 v8, s0, 0x2800, v27
	v_add_co_ci_u32_e64 v9, s0, 0, v28, s0
	ds_write_b128 v172, v[0:3] offset:3808
	ds_write_b128 v10, v[4:7] offset:26656
	ds_read_b128 v[0:3], v172 offset:5712
	ds_read_b128 v[4:7], v10 offset:24752
	global_load_dwordx4 v[11:14], v[8:9], off offset:1184
	s_waitcnt lgkmcnt(0)
	v_add_f64 v[8:9], v[0:1], v[4:5]
	v_add_f64 v[29:30], v[6:7], v[2:3]
	v_add_f64 v[31:32], v[0:1], -v[4:5]
	v_add_f64 v[0:1], v[2:3], -v[6:7]
	;; [unrolled: 21-line block ×3, first 2 shown]
	s_waitcnt vmcnt(3)
	v_fma_f64 v[2:3], v[29:30], v[25:26], v[8:9]
	v_fma_f64 v[4:5], v[27:28], v[25:26], v[0:1]
	v_fma_f64 v[6:7], -v[29:30], v[25:26], v[8:9]
	v_fma_f64 v[8:9], v[27:28], v[25:26], -v[0:1]
	v_fma_f64 v[0:1], -v[27:28], v[23:24], v[2:3]
	v_fma_f64 v[2:3], v[29:30], v[23:24], v[4:5]
	v_fma_f64 v[4:5], v[27:28], v[23:24], v[6:7]
	v_fma_f64 v[6:7], v[29:30], v[23:24], v[8:9]
	ds_write_b128 v172, v[0:3] offset:7616
	ds_write_b128 v10, v[4:7] offset:22848
	ds_read_b128 v[0:3], v172 offset:9520
	ds_read_b128 v[4:7], v10 offset:20944
	s_waitcnt lgkmcnt(0)
	v_add_f64 v[8:9], v[0:1], v[4:5]
	v_add_f64 v[23:24], v[6:7], v[2:3]
	v_add_f64 v[25:26], v[0:1], -v[4:5]
	v_add_f64 v[0:1], v[2:3], -v[6:7]
	s_waitcnt vmcnt(2)
	v_fma_f64 v[2:3], v[25:26], v[21:22], v[8:9]
	v_fma_f64 v[4:5], v[23:24], v[21:22], v[0:1]
	v_fma_f64 v[6:7], -v[25:26], v[21:22], v[8:9]
	v_fma_f64 v[8:9], v[23:24], v[21:22], -v[0:1]
	v_fma_f64 v[0:1], -v[23:24], v[19:20], v[2:3]
	v_fma_f64 v[2:3], v[25:26], v[19:20], v[4:5]
	v_fma_f64 v[4:5], v[23:24], v[19:20], v[6:7]
	v_fma_f64 v[6:7], v[25:26], v[19:20], v[8:9]
	ds_write_b128 v172, v[0:3] offset:9520
	ds_write_b128 v10, v[4:7] offset:20944
	ds_read_b128 v[0:3], v172 offset:11424
	ds_read_b128 v[4:7], v10 offset:19040
	s_waitcnt lgkmcnt(0)
	v_add_f64 v[8:9], v[0:1], v[4:5]
	v_add_f64 v[19:20], v[6:7], v[2:3]
	v_add_f64 v[21:22], v[0:1], -v[4:5]
	v_add_f64 v[0:1], v[2:3], -v[6:7]
	;; [unrolled: 18-line block ×3, first 2 shown]
	s_waitcnt vmcnt(0)
	v_fma_f64 v[2:3], v[13:14], v[17:18], v[8:9]
	v_fma_f64 v[4:5], v[11:12], v[17:18], v[0:1]
	v_fma_f64 v[6:7], -v[13:14], v[17:18], v[8:9]
	v_fma_f64 v[8:9], v[11:12], v[17:18], -v[0:1]
	v_fma_f64 v[0:1], -v[11:12], v[15:16], v[2:3]
	v_fma_f64 v[2:3], v[13:14], v[15:16], v[4:5]
	v_fma_f64 v[4:5], v[11:12], v[15:16], v[6:7]
	;; [unrolled: 1-line block ×3, first 2 shown]
	ds_write_b128 v172, v[0:3] offset:13328
	ds_write_b128 v10, v[4:7] offset:17136
	s_waitcnt lgkmcnt(0)
	s_barrier
	buffer_gl0_inv
	s_barrier
	buffer_gl0_inv
	ds_read_b128 v[4:7], v172 offset:28672
	ds_read_b128 v[68:71], v172 offset:1792
	;; [unrolled: 1-line block ×3, first 2 shown]
	ds_read_b128 v[24:27], v172
	ds_read_b128 v[64:67], v172 offset:3584
	ds_read_b128 v[52:55], v172 offset:5376
	;; [unrolled: 1-line block ×9, first 2 shown]
	s_waitcnt lgkmcnt(11)
	v_add_f64 v[164:165], v[70:71], -v[6:7]
	v_add_f64 v[166:167], v[70:71], v[6:7]
	v_add_f64 v[160:161], v[68:69], v[4:5]
	v_add_f64 v[170:171], v[68:69], -v[4:5]
	s_waitcnt lgkmcnt(8)
	v_add_f64 v[88:89], v[66:67], -v[10:11]
	v_add_f64 v[80:81], v[66:67], v[10:11]
	v_add_f64 v[84:85], v[64:65], v[8:9]
	v_add_f64 v[150:151], v[64:65], -v[8:9]
	;; [unrolled: 5-line block ×5, first 2 shown]
	s_waitcnt lgkmcnt(0)
	v_add_f64 v[116:117], v[62:63], -v[30:31]
	v_add_f64 v[72:73], v[62:63], v[30:31]
	v_mul_f64 v[162:163], v[164:165], s[12:13]
	v_mul_f64 v[168:169], v[166:167], s[4:5]
	v_add_f64 v[90:91], v[60:61], v[28:29]
	v_add_f64 v[154:155], v[60:61], -v[28:29]
	v_mul_f64 v[120:121], v[88:89], s[24:25]
	v_mul_f64 v[126:127], v[80:81], s[6:7]
	;; [unrolled: 1-line block ×10, first 2 shown]
	v_fma_f64 v[0:1], v[160:161], s[4:5], -v[162:163]
	v_fma_f64 v[2:3], v[170:171], s[12:13], v[168:169]
	v_fma_f64 v[32:33], v[84:85], s[6:7], -v[120:121]
	v_fma_f64 v[34:35], v[150:151], s[24:25], v[126:127]
	;; [unrolled: 2-line block ×6, first 2 shown]
	v_add_f64 v[0:1], v[24:25], v[0:1]
	v_add_f64 v[2:3], v[26:27], v[2:3]
	;; [unrolled: 1-line block ×4, first 2 shown]
	ds_read_b128 v[40:43], v172 offset:12544
	ds_read_b128 v[32:35], v172 offset:17920
	v_add_f64 v[0:1], v[36:37], v[0:1]
	v_add_f64 v[2:3], v[38:39], v[2:3]
	s_waitcnt lgkmcnt(0)
	v_add_f64 v[132:133], v[42:43], -v[34:35]
	v_add_f64 v[74:75], v[42:43], v[34:35]
	ds_read_b128 v[44:47], v172 offset:14336
	ds_read_b128 v[36:39], v172 offset:16128
	v_add_f64 v[146:147], v[40:41], -v[32:33]
	s_waitcnt lgkmcnt(0)
	s_barrier
	buffer_gl0_inv
	v_add_f64 v[0:1], v[76:77], v[0:1]
	v_add_f64 v[2:3], v[78:79], v[2:3]
	;; [unrolled: 1-line block ×3, first 2 shown]
	v_add_f64 v[118:119], v[46:47], -v[38:39]
	v_add_f64 v[76:77], v[46:47], v[38:39]
	v_mul_f64 v[124:125], v[132:133], s[26:27]
	v_mul_f64 v[130:131], v[74:75], s[20:21]
	v_add_f64 v[148:149], v[44:45], -v[36:37]
	v_add_f64 v[0:1], v[82:83], v[0:1]
	v_add_f64 v[2:3], v[112:113], v[2:3]
	;; [unrolled: 1-line block ×3, first 2 shown]
	v_mul_f64 v[112:113], v[118:119], s[38:39]
	v_mul_f64 v[114:115], v[76:77], s[36:37]
	v_fma_f64 v[177:178], v[78:79], s[20:21], -v[124:125]
	v_fma_f64 v[179:180], v[146:147], s[26:27], v[130:131]
	v_add_f64 v[0:1], v[173:174], v[0:1]
	v_add_f64 v[2:3], v[175:176], v[2:3]
	v_fma_f64 v[173:174], v[82:83], s[36:37], -v[112:113]
	v_fma_f64 v[175:176], v[148:149], s[38:39], v[114:115]
	v_add_f64 v[0:1], v[177:178], v[0:1]
	v_add_f64 v[2:3], v[179:180], v[2:3]
	;; [unrolled: 1-line block ×4, first 2 shown]
	v_cmpx_gt_u32_e32 0x70, v100
	s_cbranch_execz .LBB0_19
; %bb.18:
	v_mul_f64 v[173:174], v[170:171], s[38:39]
	v_mul_f64 v[175:176], v[164:165], s[38:39]
	;; [unrolled: 1-line block ×4, first 2 shown]
	s_mov_b32 s1, 0x3fd71e95
	s_mov_b32 s0, s12
	s_mov_b32 s41, 0x3feca52d
	s_mov_b32 s40, s28
	v_mul_f64 v[185:186], v[150:151], s[0:1]
	v_mul_f64 v[187:188], v[88:89], s[0:1]
	;; [unrolled: 1-line block ×4, first 2 shown]
	v_add_f64 v[70:71], v[26:27], v[70:71]
	v_add_f64 v[68:69], v[24:25], v[68:69]
	v_mul_f64 v[181:182], v[152:153], s[26:27]
	v_mul_f64 v[183:184], v[96:97], s[26:27]
	;; [unrolled: 1-line block ×4, first 2 shown]
	s_mov_b32 s43, 0x3fe58eea
	s_mov_b32 s42, s24
	;; [unrolled: 1-line block ×4, first 2 shown]
	v_fma_f64 v[197:198], v[166:167], s[36:37], v[173:174]
	v_fma_f64 v[199:200], v[160:161], s[36:37], -v[175:176]
	v_fma_f64 v[173:174], v[166:167], s[36:37], -v[173:174]
	v_fma_f64 v[175:176], v[160:161], s[36:37], v[175:176]
	v_fma_f64 v[201:202], v[166:167], s[20:21], v[177:178]
	v_fma_f64 v[203:204], v[160:161], s[20:21], -v[179:180]
	v_fma_f64 v[177:178], v[166:167], s[20:21], -v[177:178]
	v_fma_f64 v[179:180], v[160:161], s[20:21], v[179:180]
	;; [unrolled: 4-line block ×3, first 2 shown]
	v_fma_f64 v[217:218], v[80:81], s[10:11], v[193:194]
	v_fma_f64 v[219:220], v[84:85], s[10:11], -v[195:196]
	v_mul_f64 v[221:222], v[156:157], s[42:43]
	v_mul_f64 v[223:224], v[104:105], s[42:43]
	;; [unrolled: 1-line block ×4, first 2 shown]
	v_add_f64 v[66:67], v[70:71], v[66:67]
	v_add_f64 v[64:65], v[68:69], v[64:65]
	v_fma_f64 v[68:69], v[86:87], s[20:21], v[181:182]
	v_fma_f64 v[70:71], v[80:81], s[10:11], -v[193:194]
	v_add_f64 v[197:198], v[26:27], v[197:198]
	v_add_f64 v[199:200], v[24:25], v[199:200]
	;; [unrolled: 1-line block ×6, first 2 shown]
	v_fma_f64 v[193:194], v[84:85], s[10:11], v[195:196]
	v_add_f64 v[177:178], v[26:27], v[177:178]
	v_add_f64 v[179:180], v[24:25], v[179:180]
	v_fma_f64 v[195:196], v[94:95], s[20:21], -v[183:184]
	v_fma_f64 v[181:182], v[86:87], s[20:21], -v[181:182]
	v_fma_f64 v[183:184], v[94:95], s[20:21], v[183:184]
	v_fma_f64 v[229:230], v[86:87], s[14:15], v[189:190]
	v_fma_f64 v[231:232], v[94:95], s[14:15], -v[191:192]
	v_mul_f64 v[205:206], v[158:159], s[34:35]
	v_mul_f64 v[207:208], v[110:111], s[34:35]
	;; [unrolled: 1-line block ×4, first 2 shown]
	v_fma_f64 v[189:190], v[86:87], s[14:15], -v[189:190]
	v_fma_f64 v[191:192], v[94:95], s[14:15], v[191:192]
	v_add_f64 v[54:55], v[66:67], v[54:55]
	v_add_f64 v[52:53], v[64:65], v[52:53]
	;; [unrolled: 1-line block ×8, first 2 shown]
	v_fma_f64 v[217:218], v[92:93], s[6:7], v[221:222]
	v_fma_f64 v[219:220], v[106:107], s[6:7], -v[223:224]
	v_fma_f64 v[221:222], v[92:93], s[6:7], -v[221:222]
	v_add_f64 v[70:71], v[70:71], v[177:178]
	v_add_f64 v[177:178], v[193:194], v[179:180]
	v_fma_f64 v[179:180], v[106:107], s[6:7], v[223:224]
	v_fma_f64 v[193:194], v[92:93], s[22:23], v[225:226]
	v_fma_f64 v[223:224], v[106:107], s[22:23], -v[227:228]
	v_mul_f64 v[201:202], v[154:155], s[38:39]
	v_mul_f64 v[203:204], v[116:117], s[38:39]
	;; [unrolled: 1-line block ×4, first 2 shown]
	s_mov_b32 s47, 0x3fefdd0d
	s_mov_b32 s46, s16
	v_add_f64 v[54:55], v[54:55], v[58:59]
	v_add_f64 v[52:53], v[52:53], v[56:57]
	;; [unrolled: 1-line block ×8, first 2 shown]
	v_mul_f64 v[183:184], v[154:155], s[40:41]
	v_mul_f64 v[185:186], v[116:117], s[40:41]
	v_fma_f64 v[187:188], v[98:99], s[22:23], v[205:206]
	v_fma_f64 v[195:196], v[108:109], s[22:23], -v[207:208]
	v_fma_f64 v[197:198], v[98:99], s[22:23], -v[205:206]
	;; [unrolled: 1-line block ×3, first 2 shown]
	v_fma_f64 v[205:206], v[106:107], s[22:23], v[227:228]
	v_add_f64 v[70:71], v[189:190], v[70:71]
	v_add_f64 v[177:178], v[191:192], v[177:178]
	v_fma_f64 v[189:190], v[108:109], s[22:23], v[207:208]
	v_fma_f64 v[191:192], v[98:99], s[4:5], v[209:210]
	v_fma_f64 v[207:208], v[108:109], s[4:5], -v[211:212]
	v_fma_f64 v[209:210], v[98:99], s[4:5], -v[209:210]
	v_fma_f64 v[211:212], v[108:109], s[4:5], v[211:212]
	v_add_f64 v[50:51], v[54:55], v[50:51]
	v_add_f64 v[48:49], v[52:53], v[48:49]
	;; [unrolled: 1-line block ×8, first 2 shown]
	v_mul_f64 v[181:182], v[146:147], s[42:43]
	v_mul_f64 v[193:194], v[132:133], s[42:43]
	v_fma_f64 v[217:218], v[72:73], s[36:37], v[201:202]
	v_fma_f64 v[219:220], v[90:91], s[36:37], -v[203:204]
	v_fma_f64 v[221:222], v[72:73], s[10:11], v[183:184]
	v_fma_f64 v[183:184], v[72:73], s[10:11], -v[183:184]
	v_mul_f64 v[175:176], v[148:149], s[30:31]
	v_add_f64 v[70:71], v[199:200], v[70:71]
	v_add_f64 v[177:178], v[205:206], v[177:178]
	v_fma_f64 v[199:200], v[90:91], s[10:11], -v[185:186]
	v_fma_f64 v[185:186], v[90:91], s[10:11], v[185:186]
	v_mul_f64 v[179:180], v[118:119], s[30:31]
	v_fma_f64 v[205:206], v[78:79], s[18:19], v[215:216]
	s_mov_b32 s49, 0x3feec746
	v_add_f64 v[50:51], v[50:51], v[62:63]
	v_add_f64 v[48:49], v[48:49], v[60:61]
	;; [unrolled: 1-line block ×8, first 2 shown]
	v_mul_f64 v[68:69], v[170:171], s[34:35]
	v_mul_f64 v[187:188], v[148:149], s[46:47]
	;; [unrolled: 1-line block ×3, first 2 shown]
	v_fma_f64 v[191:192], v[72:73], s[36:37], -v[201:202]
	v_fma_f64 v[195:196], v[90:91], s[36:37], v[203:204]
	v_fma_f64 v[197:198], v[74:75], s[18:19], v[213:214]
	v_fma_f64 v[201:202], v[78:79], s[18:19], -v[215:216]
	v_fma_f64 v[203:204], v[74:75], s[18:19], -v[213:214]
	v_add_f64 v[70:71], v[209:210], v[70:71]
	v_add_f64 v[177:178], v[211:212], v[177:178]
	v_fma_f64 v[207:208], v[74:75], s[6:7], v[181:182]
	v_fma_f64 v[209:210], v[78:79], s[6:7], -v[193:194]
	s_mov_b32 s48, s30
	v_fma_f64 v[181:182], v[74:75], s[6:7], -v[181:182]
	v_fma_f64 v[193:194], v[78:79], s[6:7], v[193:194]
	v_add_f64 v[42:43], v[50:51], v[42:43]
	v_add_f64 v[52:53], v[221:222], v[52:53]
	;; [unrolled: 1-line block ×7, first 2 shown]
	v_mul_f64 v[183:184], v[164:165], s[34:35]
	v_fma_f64 v[185:186], v[76:77], s[18:19], v[175:176]
	v_fma_f64 v[199:200], v[82:83], s[18:19], -v[179:180]
	v_fma_f64 v[211:212], v[76:77], s[14:15], v[187:188]
	v_fma_f64 v[187:188], v[76:77], s[14:15], -v[187:188]
	v_add_f64 v[40:41], v[48:49], v[40:41]
	v_fma_f64 v[175:176], v[76:77], s[18:19], -v[175:176]
	v_fma_f64 v[179:180], v[82:83], s[18:19], v[179:180]
	v_add_f64 v[70:71], v[191:192], v[70:71]
	v_add_f64 v[177:178], v[195:196], v[177:178]
	v_fma_f64 v[191:192], v[82:83], s[14:15], -v[189:190]
	v_fma_f64 v[189:190], v[82:83], s[14:15], v[189:190]
	v_mul_f64 v[173:174], v[170:171], s[30:31]
	v_mul_f64 v[64:65], v[170:171], s[16:17]
	;; [unrolled: 1-line block ×4, first 2 shown]
	v_add_f64 v[48:49], v[197:198], v[52:53]
	v_add_f64 v[50:51], v[201:202], v[54:55]
	;; [unrolled: 1-line block ×6, first 2 shown]
	v_fma_f64 v[60:61], v[166:167], s[22:23], v[68:69]
	v_mul_f64 v[62:63], v[150:151], s[48:49]
	v_fma_f64 v[197:198], v[160:161], s[22:23], -v[183:184]
	v_mul_f64 v[201:202], v[88:89], s[48:49]
	v_fma_f64 v[68:69], v[166:167], s[22:23], -v[68:69]
	v_add_f64 v[203:204], v[40:41], v[44:45]
	v_mul_f64 v[170:171], v[170:171], s[12:13]
	s_mov_b32 s51, 0x3fe0d888
	v_add_f64 v[70:71], v[181:182], v[70:71]
	v_add_f64 v[177:178], v[193:194], v[177:178]
	v_fma_f64 v[181:182], v[160:161], s[22:23], v[183:184]
	v_add_f64 v[193:194], v[42:43], v[46:47]
	v_mul_f64 v[183:184], v[164:165], s[30:31]
	s_mov_b32 s50, s26
	v_mul_f64 v[207:208], v[158:159], s[46:47]
	v_mul_f64 v[209:210], v[110:111], s[46:47]
	v_add_f64 v[46:47], v[211:212], v[48:49]
	v_add_f64 v[44:45], v[191:192], v[50:51]
	;; [unrolled: 1-line block ×7, first 2 shown]
	v_fma_f64 v[60:61], v[80:81], s[18:19], v[62:63]
	v_mul_f64 v[185:186], v[152:153], s[12:13]
	v_add_f64 v[187:188], v[24:25], v[197:198]
	v_fma_f64 v[189:190], v[84:85], s[18:19], -v[201:202]
	v_mul_f64 v[191:192], v[96:97], s[12:13]
	v_add_f64 v[68:69], v[26:27], v[68:69]
	v_fma_f64 v[62:63], v[80:81], s[18:19], -v[62:63]
	v_add_f64 v[54:55], v[175:176], v[70:71]
	v_add_f64 v[52:53], v[179:180], v[177:178]
	v_add_f64 v[175:176], v[24:25], v[181:182]
	v_fma_f64 v[177:178], v[84:85], s[18:19], v[201:202]
	v_mul_f64 v[197:198], v[156:157], s[26:27]
	v_mul_f64 v[199:200], v[104:105], s[26:27]
	;; [unrolled: 1-line block ×3, first 2 shown]
	v_fma_f64 v[70:71], v[166:167], s[18:19], v[173:174]
	v_fma_f64 v[173:174], v[166:167], s[18:19], -v[173:174]
	v_fma_f64 v[179:180], v[166:167], s[14:15], v[64:65]
	v_fma_f64 v[64:65], v[166:167], s[14:15], -v[64:65]
	v_add_f64 v[38:39], v[193:194], v[38:39]
	v_add_f64 v[36:37], v[203:204], v[36:37]
	v_fma_f64 v[181:182], v[166:167], s[10:11], v[66:67]
	v_fma_f64 v[66:67], v[166:167], s[10:11], -v[66:67]
	v_add_f64 v[58:59], v[60:61], v[58:59]
	v_fma_f64 v[60:61], v[86:87], s[4:5], v[185:186]
	v_fma_f64 v[193:194], v[166:167], s[6:7], v[195:196]
	v_add_f64 v[187:188], v[189:190], v[187:188]
	v_fma_f64 v[189:190], v[94:95], s[4:5], -v[191:192]
	v_fma_f64 v[166:167], v[166:167], s[6:7], -v[195:196]
	v_mul_f64 v[195:196], v[164:165], s[28:29]
	v_add_f64 v[62:63], v[62:63], v[68:69]
	v_fma_f64 v[68:69], v[86:87], s[4:5], -v[185:186]
	v_mul_f64 v[164:165], v[164:165], s[24:25]
	v_add_f64 v[168:169], v[168:169], -v[170:171]
	v_mul_f64 v[170:171], v[160:161], s[4:5]
	v_add_f64 v[175:176], v[177:178], v[175:176]
	v_fma_f64 v[177:178], v[94:95], s[4:5], v[191:192]
	v_fma_f64 v[185:186], v[160:161], s[18:19], -v[183:184]
	v_mul_f64 v[191:192], v[150:151], s[50:51]
	v_mul_f64 v[203:204], v[88:89], s[50:51]
	v_fma_f64 v[183:184], v[160:161], s[18:19], v[183:184]
	v_fma_f64 v[201:202], v[160:161], s[14:15], -v[56:57]
	v_fma_f64 v[56:57], v[160:161], s[14:15], v[56:57]
	v_add_f64 v[70:71], v[26:27], v[70:71]
	v_mul_f64 v[211:212], v[96:97], s[42:43]
	v_mul_f64 v[213:214], v[154:155], s[24:25]
	v_add_f64 v[58:59], v[60:61], v[58:59]
	v_fma_f64 v[60:61], v[92:93], s[20:21], v[197:198]
	v_mul_f64 v[215:216], v[116:117], s[24:25]
	v_add_f64 v[187:188], v[189:190], v[187:188]
	v_fma_f64 v[189:190], v[106:107], s[20:21], -v[199:200]
	v_fma_f64 v[205:206], v[160:161], s[10:11], -v[195:196]
	v_fma_f64 v[195:196], v[160:161], s[10:11], v[195:196]
	v_add_f64 v[62:63], v[68:69], v[62:63]
	v_fma_f64 v[68:69], v[92:93], s[20:21], -v[197:198]
	v_fma_f64 v[197:198], v[160:161], s[6:7], -v[164:165]
	v_fma_f64 v[160:161], v[160:161], s[6:7], v[164:165]
	v_add_f64 v[162:163], v[170:171], v[162:163]
	v_add_f64 v[164:165], v[177:178], v[175:176]
	v_fma_f64 v[170:171], v[106:107], s[20:21], v[199:200]
	v_add_f64 v[175:176], v[24:25], v[185:186]
	v_fma_f64 v[177:178], v[80:81], s[20:21], v[191:192]
	v_mul_f64 v[185:186], v[152:153], s[42:43]
	v_fma_f64 v[199:200], v[84:85], s[20:21], -v[203:204]
	v_mul_f64 v[217:218], v[146:147], s[38:39]
	v_mul_f64 v[219:220], v[132:133], s[38:39]
	v_add_f64 v[173:174], v[26:27], v[173:174]
	v_add_f64 v[183:184], v[24:25], v[183:184]
	;; [unrolled: 1-line block ×4, first 2 shown]
	v_fma_f64 v[60:61], v[98:99], s[14:15], v[207:208]
	v_add_f64 v[201:202], v[24:25], v[201:202]
	v_add_f64 v[187:188], v[189:190], v[187:188]
	v_fma_f64 v[189:190], v[108:109], s[14:15], -v[209:210]
	v_add_f64 v[64:65], v[26:27], v[64:65]
	v_add_f64 v[56:57], v[24:25], v[56:57]
	;; [unrolled: 1-line block ×3, first 2 shown]
	v_fma_f64 v[68:69], v[98:99], s[14:15], -v[207:208]
	v_mul_f64 v[207:208], v[156:157], s[28:29]
	v_add_f64 v[181:182], v[26:27], v[181:182]
	v_add_f64 v[205:206], v[24:25], v[205:206]
	;; [unrolled: 1-line block ×3, first 2 shown]
	v_fma_f64 v[170:171], v[108:109], s[14:15], v[209:210]
	v_add_f64 v[70:71], v[177:178], v[70:71]
	v_fma_f64 v[177:178], v[86:87], s[6:7], v[185:186]
	v_add_f64 v[175:176], v[199:200], v[175:176]
	v_fma_f64 v[199:200], v[94:95], s[6:7], -v[211:212]
	v_mul_f64 v[209:210], v[104:105], s[28:29]
	v_add_f64 v[66:67], v[26:27], v[66:67]
	v_add_f64 v[195:196], v[24:25], v[195:196]
	;; [unrolled: 1-line block ×5, first 2 shown]
	v_fma_f64 v[60:61], v[72:73], s[6:7], v[213:214]
	v_add_f64 v[166:167], v[26:27], v[166:167]
	v_add_f64 v[187:188], v[189:190], v[187:188]
	v_fma_f64 v[189:190], v[90:91], s[6:7], -v[215:216]
	v_add_f64 v[160:161], v[24:25], v[160:161]
	v_mul_f64 v[221:222], v[110:111], s[38:39]
	v_add_f64 v[62:63], v[68:69], v[62:63]
	v_fma_f64 v[68:69], v[72:73], s[6:7], -v[213:214]
	v_mul_f64 v[213:214], v[150:151], s[38:39]
	v_add_f64 v[26:27], v[26:27], v[168:169]
	v_fma_f64 v[168:169], v[80:81], s[20:21], -v[191:192]
	v_add_f64 v[164:165], v[170:171], v[164:165]
	v_fma_f64 v[170:171], v[90:91], s[6:7], v[215:216]
	v_add_f64 v[70:71], v[177:178], v[70:71]
	v_fma_f64 v[177:178], v[92:93], s[10:11], v[207:208]
	v_add_f64 v[175:176], v[199:200], v[175:176]
	v_fma_f64 v[199:200], v[106:107], s[10:11], -v[209:210]
	v_add_f64 v[24:25], v[24:25], v[162:163]
	v_fma_f64 v[162:163], v[84:85], s[20:21], v[203:204]
	v_mul_f64 v[191:192], v[88:89], s[38:39]
	v_add_f64 v[32:33], v[36:37], v[32:33]
	v_mul_f64 v[215:216], v[158:159], s[38:39]
	v_add_f64 v[58:59], v[60:61], v[58:59]
	v_fma_f64 v[60:61], v[74:75], s[36:37], v[217:218]
	v_add_f64 v[34:35], v[38:39], v[34:35]
	v_add_f64 v[187:188], v[189:190], v[187:188]
	v_fma_f64 v[189:190], v[78:79], s[36:37], -v[219:220]
	v_add_f64 v[62:63], v[68:69], v[62:63]
	v_fma_f64 v[68:69], v[74:75], s[36:37], -v[217:218]
	v_fma_f64 v[203:204], v[80:81], s[36:37], -v[213:214]
	v_mul_f64 v[217:218], v[152:153], s[48:49]
	v_add_f64 v[168:169], v[168:169], v[173:174]
	v_add_f64 v[38:39], v[170:171], v[164:165]
	v_fma_f64 v[164:165], v[78:79], s[36:37], v[219:220]
	v_add_f64 v[36:37], v[177:178], v[70:71]
	v_fma_f64 v[177:178], v[108:109], s[36:37], -v[221:222]
	v_add_f64 v[175:176], v[199:200], v[175:176]
	v_fma_f64 v[173:174], v[86:87], s[6:7], -v[185:186]
	v_add_f64 v[162:163], v[162:163], v[183:184]
	v_fma_f64 v[183:184], v[94:95], s[6:7], v[211:212]
	v_add_f64 v[28:29], v[32:33], v[28:29]
	v_mul_f64 v[32:33], v[150:151], s[34:35]
	v_mul_f64 v[170:171], v[154:155], s[46:47]
	v_add_f64 v[58:59], v[60:61], v[58:59]
	v_fma_f64 v[60:61], v[80:81], s[36:37], v[213:214]
	v_mul_f64 v[199:200], v[116:117], s[46:47]
	v_add_f64 v[185:186], v[189:190], v[187:188]
	v_fma_f64 v[187:188], v[84:85], s[36:37], -v[191:192]
	v_mul_f64 v[189:190], v[96:97], s[48:49]
	v_fma_f64 v[191:192], v[84:85], s[36:37], v[191:192]
	s_mov_b32 s47, 0x3fc7851a
	s_mov_b32 s46, s38
	v_fma_f64 v[70:71], v[98:99], s[36:37], v[215:216]
	v_add_f64 v[62:63], v[68:69], v[62:63]
	v_add_f64 v[64:65], v[203:204], v[64:65]
	v_fma_f64 v[68:69], v[86:87], s[18:19], -v[217:218]
	v_mul_f64 v[203:204], v[156:157], s[0:1]
	v_add_f64 v[38:39], v[164:165], v[38:39]
	v_add_f64 v[164:165], v[177:178], v[175:176]
	;; [unrolled: 1-line block ×3, first 2 shown]
	v_fma_f64 v[173:174], v[92:93], s[10:11], -v[207:208]
	v_add_f64 v[162:163], v[183:184], v[162:163]
	v_fma_f64 v[177:178], v[106:107], s[10:11], v[209:210]
	v_mul_f64 v[209:210], v[152:153], s[46:47]
	v_add_f64 v[30:31], v[34:35], v[30:31]
	v_mul_f64 v[207:208], v[158:159], s[28:29]
	v_add_f64 v[60:61], v[60:61], v[179:180]
	v_fma_f64 v[179:180], v[86:87], s[18:19], v[217:218]
	v_fma_f64 v[175:176], v[90:91], s[14:15], -v[199:200]
	v_add_f64 v[183:184], v[187:188], v[201:202]
	v_fma_f64 v[187:188], v[94:95], s[18:19], -v[189:190]
	v_mul_f64 v[201:202], v[104:105], s[0:1]
	v_add_f64 v[56:57], v[191:192], v[56:57]
	v_fma_f64 v[189:190], v[94:95], s[18:19], v[189:190]
	v_fma_f64 v[191:192], v[80:81], s[22:23], v[32:33]
	v_fma_f64 v[32:33], v[80:81], s[22:23], -v[32:33]
	v_add_f64 v[34:35], v[70:71], v[36:37]
	v_fma_f64 v[36:37], v[72:73], s[14:15], v[170:171]
	v_mul_f64 v[70:71], v[146:147], s[12:13]
	v_add_f64 v[64:65], v[68:69], v[64:65]
	v_fma_f64 v[68:69], v[92:93], s[4:5], -v[203:204]
	v_mul_f64 v[211:212], v[88:89], s[34:35]
	v_add_f64 v[168:169], v[173:174], v[168:169]
	v_fma_f64 v[173:174], v[98:99], s[36:37], -v[215:216]
	v_add_f64 v[162:163], v[177:178], v[162:163]
	v_fma_f64 v[177:178], v[108:109], s[36:37], v[221:222]
	v_fma_f64 v[170:171], v[72:73], s[14:15], -v[170:171]
	v_add_f64 v[22:23], v[30:31], v[22:23]
	v_add_f64 v[20:21], v[28:29], v[20:21]
	;; [unrolled: 1-line block ×3, first 2 shown]
	v_fma_f64 v[179:180], v[92:93], s[4:5], v[203:204]
	v_mul_f64 v[203:204], v[110:111], s[28:29]
	v_add_f64 v[183:184], v[187:188], v[183:184]
	v_fma_f64 v[187:188], v[106:107], s[4:5], -v[201:202]
	v_add_f64 v[164:165], v[175:176], v[164:165]
	v_add_f64 v[56:57], v[189:190], v[56:57]
	v_fma_f64 v[189:190], v[106:107], s[4:5], v[201:202]
	v_add_f64 v[181:182], v[191:192], v[181:182]
	v_fma_f64 v[191:192], v[86:87], s[36:37], v[209:210]
	v_mul_f64 v[201:202], v[156:157], s[48:49]
	v_add_f64 v[32:33], v[32:33], v[66:67]
	v_fma_f64 v[66:67], v[86:87], s[36:37], -v[209:210]
	v_add_f64 v[34:35], v[36:37], v[34:35]
	v_mul_f64 v[36:37], v[132:133], s[12:13]
	v_fma_f64 v[213:214], v[74:75], s[4:5], v[70:71]
	v_add_f64 v[64:65], v[68:69], v[64:65]
	v_fma_f64 v[68:69], v[98:99], s[10:11], -v[207:208]
	v_mul_f64 v[175:176], v[154:155], s[26:27]
	v_fma_f64 v[217:218], v[84:85], s[22:23], -v[211:212]
	v_mul_f64 v[209:210], v[96:97], s[46:47]
	v_add_f64 v[168:169], v[173:174], v[168:169]
	v_add_f64 v[162:163], v[177:178], v[162:163]
	v_fma_f64 v[173:174], v[90:91], s[14:15], v[199:200]
	v_add_f64 v[60:61], v[179:180], v[60:61]
	v_fma_f64 v[177:178], v[98:99], s[10:11], v[207:208]
	v_fma_f64 v[199:200], v[84:85], s[22:23], v[211:212]
	v_mul_f64 v[211:212], v[150:151], s[16:17]
	v_add_f64 v[179:180], v[187:188], v[183:184]
	v_add_f64 v[56:57], v[189:190], v[56:57]
	v_fma_f64 v[189:190], v[108:109], s[10:11], v[203:204]
	v_add_f64 v[181:182], v[191:192], v[181:182]
	v_fma_f64 v[191:192], v[92:93], s[18:19], v[201:202]
	v_fma_f64 v[201:202], v[92:93], s[18:19], -v[201:202]
	v_add_f64 v[32:33], v[66:67], v[32:33]
	v_fma_f64 v[183:184], v[108:109], s[10:11], -v[203:204]
	v_fma_f64 v[215:216], v[78:79], s[4:5], -v[36:37]
	v_mul_f64 v[187:188], v[116:117], s[26:27]
	v_fma_f64 v[70:71], v[74:75], s[4:5], -v[70:71]
	v_add_f64 v[64:65], v[68:69], v[64:65]
	v_fma_f64 v[68:69], v[72:73], s[20:21], -v[175:176]
	v_add_f64 v[205:206], v[217:218], v[205:206]
	v_mul_f64 v[217:218], v[104:105], s[48:49]
	v_add_f64 v[168:169], v[170:171], v[168:169]
	v_fma_f64 v[36:37], v[78:79], s[4:5], v[36:37]
	v_add_f64 v[162:163], v[173:174], v[162:163]
	v_fma_f64 v[170:171], v[72:73], s[20:21], v[175:176]
	v_add_f64 v[60:61], v[177:178], v[60:61]
	v_add_f64 v[175:176], v[199:200], v[195:196]
	v_fma_f64 v[177:178], v[94:95], s[36:37], v[209:210]
	v_mul_f64 v[150:151], v[150:151], s[24:25]
	v_mul_f64 v[30:31], v[88:89], s[16:17]
	v_add_f64 v[56:57], v[189:190], v[56:57]
	v_add_f64 v[189:190], v[213:214], v[34:35]
	;; [unrolled: 1-line block ×3, first 2 shown]
	v_fma_f64 v[34:35], v[80:81], s[14:15], v[211:212]
	v_mul_f64 v[191:192], v[152:153], s[34:35]
	v_add_f64 v[32:33], v[201:202], v[32:33]
	v_mul_f64 v[201:202], v[84:85], s[6:7]
	v_add_f64 v[173:174], v[183:184], v[179:180]
	v_fma_f64 v[179:180], v[90:91], s[20:21], -v[187:188]
	v_fma_f64 v[80:81], v[80:81], s[14:15], -v[211:212]
	v_mul_f64 v[152:153], v[152:153], s[28:29]
	v_add_f64 v[18:19], v[22:23], v[18:19]
	v_fma_f64 v[88:89], v[106:107], s[18:19], v[217:218]
	v_add_f64 v[28:29], v[70:71], v[168:169]
	v_add_f64 v[22:23], v[20:21], v[16:17]
	;; [unrolled: 1-line block ×3, first 2 shown]
	v_mul_f64 v[20:21], v[96:97], s[34:35]
	v_add_f64 v[36:37], v[170:171], v[60:61]
	v_mul_f64 v[170:171], v[148:149], s[40:41]
	v_add_f64 v[70:71], v[177:178], v[175:176]
	v_add_f64 v[126:127], v[126:127], -v[150:151]
	v_mul_f64 v[150:151], v[94:95], s[10:11]
	v_fma_f64 v[16:17], v[84:85], s[14:15], v[30:31]
	v_fma_f64 v[30:31], v[84:85], s[14:15], -v[30:31]
	v_mul_f64 v[96:97], v[156:157], s[38:39]
	v_add_f64 v[34:35], v[34:35], v[193:194]
	v_fma_f64 v[168:169], v[86:87], s[22:23], v[191:192]
	v_fma_f64 v[86:87], v[86:87], s[22:23], -v[191:192]
	v_add_f64 v[120:121], v[201:202], v[120:121]
	v_mul_f64 v[104:105], v[104:105], s[38:39]
	v_add_f64 v[60:61], v[179:180], v[173:174]
	v_mul_f64 v[173:174], v[106:107], s[14:15]
	v_add_f64 v[80:81], v[80:81], v[166:167]
	v_add_f64 v[134:135], v[134:135], -v[152:153]
	v_fma_f64 v[66:67], v[94:95], s[36:37], -v[209:210]
	v_mul_f64 v[203:204], v[158:159], s[42:43]
	v_mul_f64 v[84:85], v[108:109], s[18:19]
	;; [unrolled: 1-line block ×3, first 2 shown]
	v_fma_f64 v[175:176], v[94:95], s[22:23], v[20:21]
	v_fma_f64 v[94:95], v[94:95], s[22:23], -v[20:21]
	v_fma_f64 v[195:196], v[106:107], s[18:19], -v[217:218]
	v_add_f64 v[70:71], v[88:89], v[70:71]
	v_mul_f64 v[88:89], v[156:157], s[16:17]
	v_add_f64 v[26:27], v[126:127], v[26:27]
	v_add_f64 v[122:123], v[150:151], v[122:123]
	;; [unrolled: 1-line block ×4, first 2 shown]
	v_mul_f64 v[156:157], v[158:159], s[30:31]
	v_add_f64 v[34:35], v[168:169], v[34:35]
	v_fma_f64 v[168:169], v[76:77], s[10:11], v[170:171]
	v_fma_f64 v[170:171], v[76:77], s[10:11], -v[170:171]
	v_add_f64 v[24:25], v[120:121], v[24:25]
	v_mul_f64 v[158:159], v[158:159], s[50:51]
	v_fma_f64 v[179:180], v[92:93], s[36:37], v[96:97]
	v_fma_f64 v[92:93], v[92:93], s[36:37], -v[96:97]
	v_add_f64 v[80:81], v[86:87], v[80:81]
	v_add_f64 v[66:67], v[66:67], v[205:206]
	v_fma_f64 v[183:184], v[90:91], s[20:21], v[187:188]
	v_fma_f64 v[187:188], v[98:99], s[6:7], v[203:204]
	v_fma_f64 v[199:200], v[98:99], s[6:7], -v[203:204]
	v_mul_f64 v[166:167], v[90:91], s[22:23]
	v_mul_f64 v[152:153], v[154:155], s[34:35]
	v_add_f64 v[84:85], v[84:85], v[136:137]
	v_add_f64 v[64:65], v[68:69], v[64:65]
	v_add_f64 v[88:89], v[140:141], -v[88:89]
	v_add_f64 v[26:27], v[134:135], v[26:27]
	v_fma_f64 v[68:69], v[74:75], s[22:23], -v[207:208]
	v_add_f64 v[134:135], v[175:176], v[160:161]
	v_fma_f64 v[160:161], v[106:107], s[36:37], v[104:105]
	v_fma_f64 v[104:105], v[106:107], s[36:37], -v[104:105]
	v_add_f64 v[30:31], v[94:95], v[30:31]
	v_add_f64 v[142:143], v[142:143], -v[156:157]
	v_add_f64 v[20:21], v[170:171], v[62:63]
	v_add_f64 v[62:63], v[173:174], v[128:129]
	;; [unrolled: 1-line block ×3, first 2 shown]
	v_mul_f64 v[122:123], v[110:111], s[42:43]
	v_mul_f64 v[110:111], v[110:111], s[50:51]
	v_fma_f64 v[94:95], v[98:99], s[20:21], v[158:159]
	v_fma_f64 v[98:99], v[98:99], s[20:21], -v[158:159]
	v_add_f64 v[80:81], v[92:93], v[80:81]
	v_mul_f64 v[92:93], v[154:155], s[12:13]
	v_mul_f64 v[154:155], v[154:155], s[48:49]
	v_add_f64 v[66:67], v[195:196], v[66:67]
	v_add_f64 v[34:35], v[179:180], v[34:35]
	;; [unrolled: 1-line block ×3, first 2 shown]
	v_mul_f64 v[150:151], v[78:79], s[20:21]
	v_mul_f64 v[96:97], v[146:147], s[26:27]
	v_add_f64 v[26:27], v[88:89], v[26:27]
	v_add_f64 v[144:145], v[144:145], -v[152:153]
	v_add_f64 v[138:139], v[166:167], v[138:139]
	v_add_f64 v[134:135], v[160:161], v[134:135]
	v_mul_f64 v[106:107], v[132:133], s[44:45]
	v_add_f64 v[30:31], v[104:105], v[30:31]
	v_mul_f64 v[152:153], v[132:133], s[16:17]
	v_mul_f64 v[132:133], v[132:133], s[40:41]
	v_add_f64 v[64:65], v[68:69], v[64:65]
	v_add_f64 v[24:25], v[62:63], v[24:25]
	v_mul_f64 v[62:63], v[116:117], s[12:13]
	v_fma_f64 v[160:161], v[108:109], s[6:7], v[122:123]
	v_fma_f64 v[173:174], v[108:109], s[20:21], v[110:111]
	v_mul_f64 v[116:117], v[116:117], s[48:49]
	v_fma_f64 v[122:123], v[108:109], s[6:7], -v[122:123]
	v_fma_f64 v[108:109], v[108:109], s[20:21], -v[110:111]
	v_fma_f64 v[104:105], v[72:73], s[4:5], -v[92:93]
	v_add_f64 v[80:81], v[98:99], v[80:81]
	v_mul_f64 v[98:99], v[146:147], s[16:17]
	v_mul_f64 v[146:147], v[146:147], s[40:41]
	v_fma_f64 v[166:167], v[72:73], s[18:19], -v[154:155]
	v_add_f64 v[68:69], v[187:188], v[181:182]
	v_add_f64 v[26:27], v[142:143], v[26:27]
	v_fma_f64 v[92:93], v[72:73], s[4:5], v[92:93]
	v_fma_f64 v[72:73], v[72:73], s[18:19], v[154:155]
	v_add_f64 v[34:35], v[94:95], v[34:35]
	v_add_f64 v[14:15], v[18:19], v[14:15]
	;; [unrolled: 1-line block ×3, first 2 shown]
	v_mul_f64 v[126:127], v[118:119], s[40:41]
	v_mul_f64 v[177:178], v[118:119], s[34:35]
	;; [unrolled: 1-line block ×3, first 2 shown]
	v_add_f64 v[24:25], v[84:85], v[24:25]
	v_mul_f64 v[140:141], v[148:149], s[38:39]
	v_add_f64 v[70:71], v[160:161], v[70:71]
	v_add_f64 v[134:135], v[173:174], v[134:135]
	v_fma_f64 v[160:161], v[90:91], s[18:19], v[116:117]
	v_fma_f64 v[173:174], v[90:91], s[4:5], v[62:63]
	v_add_f64 v[66:67], v[122:123], v[66:67]
	v_fma_f64 v[62:63], v[90:91], s[4:5], -v[62:63]
	v_fma_f64 v[90:91], v[90:91], s[18:19], -v[116:117]
	v_add_f64 v[30:31], v[108:109], v[30:31]
	v_mul_f64 v[88:89], v[118:119], s[42:43]
	v_mul_f64 v[84:85], v[148:149], s[26:27]
	;; [unrolled: 1-line block ×3, first 2 shown]
	v_add_f64 v[32:33], v[104:105], v[32:33]
	v_fma_f64 v[104:105], v[74:75], s[14:15], -v[98:99]
	v_mul_f64 v[94:95], v[118:119], s[0:1]
	v_add_f64 v[96:97], v[130:131], -v[96:97]
	v_add_f64 v[26:27], v[144:145], v[26:27]
	v_add_f64 v[118:119], v[150:151], v[124:125]
	v_mul_f64 v[120:121], v[148:149], s[34:35]
	v_mul_f64 v[128:129], v[148:149], s[42:43]
	;; [unrolled: 1-line block ×3, first 2 shown]
	v_add_f64 v[18:19], v[138:139], v[24:25]
	v_fma_f64 v[108:109], v[74:75], s[10:11], -v[146:147]
	v_add_f64 v[80:81], v[166:167], v[80:81]
	v_fma_f64 v[116:117], v[78:79], s[10:11], v[132:133]
	v_add_f64 v[22:23], v[160:161], v[134:135]
	v_fma_f64 v[154:155], v[78:79], s[14:15], v[152:153]
	v_add_f64 v[24:25], v[173:174], v[70:71]
	v_add_f64 v[56:57], v[183:184], v[56:57]
	v_fma_f64 v[110:111], v[78:79], s[22:23], -v[106:107]
	v_fma_f64 v[106:107], v[78:79], s[22:23], v[106:107]
	v_fma_f64 v[170:171], v[74:75], s[22:23], v[207:208]
	;; [unrolled: 1-line block ×3, first 2 shown]
	v_add_f64 v[68:69], v[92:93], v[68:69]
	v_fma_f64 v[92:93], v[78:79], s[14:15], -v[152:153]
	v_add_f64 v[62:63], v[62:63], v[66:67]
	v_fma_f64 v[74:75], v[74:75], s[10:11], v[146:147]
	v_add_f64 v[34:35], v[72:73], v[34:35]
	v_fma_f64 v[72:73], v[78:79], s[10:11], -v[132:133]
	v_add_f64 v[30:31], v[90:91], v[30:31]
	v_add_f64 v[10:11], v[14:15], v[10:11]
	;; [unrolled: 1-line block ×3, first 2 shown]
	v_fma_f64 v[66:67], v[76:77], s[20:21], -v[84:85]
	v_add_f64 v[32:33], v[104:105], v[32:33]
	v_add_f64 v[104:105], v[114:115], -v[140:141]
	v_add_f64 v[26:27], v[96:97], v[26:27]
	v_add_f64 v[86:87], v[86:87], v[112:113]
	;; [unrolled: 1-line block ×3, first 2 shown]
	v_fma_f64 v[158:159], v[76:77], s[22:23], v[120:121]
	v_fma_f64 v[120:121], v[76:77], s[22:23], -v[120:121]
	v_fma_f64 v[78:79], v[76:77], s[4:5], -v[148:149]
	v_add_f64 v[80:81], v[108:109], v[80:81]
	v_fma_f64 v[90:91], v[82:83], s[4:5], v[94:95]
	v_add_f64 v[22:23], v[116:117], v[22:23]
	v_fma_f64 v[98:99], v[82:83], s[20:21], v[122:123]
	;; [unrolled: 2-line block ×3, first 2 shown]
	v_fma_f64 v[128:129], v[76:77], s[6:7], -v[128:129]
	v_fma_f64 v[142:143], v[82:83], s[6:7], v[88:89]
	v_add_f64 v[56:57], v[106:107], v[56:57]
	v_add_f64 v[16:17], v[168:169], v[58:59]
	v_fma_f64 v[168:169], v[82:83], s[22:23], v[177:178]
	v_fma_f64 v[58:59], v[82:83], s[10:11], -v[126:127]
	v_fma_f64 v[126:127], v[82:83], s[10:11], v[126:127]
	v_add_f64 v[164:165], v[215:216], v[164:165]
	v_fma_f64 v[156:157], v[82:83], s[22:23], -v[177:178]
	v_add_f64 v[106:107], v[170:171], v[36:37]
	v_fma_f64 v[88:89], v[82:83], s[6:7], -v[88:89]
	v_add_f64 v[60:61], v[110:111], v[60:61]
	v_fma_f64 v[84:85], v[76:77], s[20:21], v[84:85]
	v_add_f64 v[68:69], v[70:71], v[68:69]
	v_fma_f64 v[70:71], v[82:83], s[20:21], -v[122:123]
	v_add_f64 v[92:93], v[92:93], v[62:63]
	v_fma_f64 v[76:77], v[76:77], s[4:5], v[148:149]
	v_add_f64 v[74:75], v[74:75], v[34:35]
	v_fma_f64 v[82:83], v[82:83], s[4:5], -v[94:95]
	v_add_f64 v[72:73], v[72:73], v[30:31]
	v_add_f64 v[36:37], v[10:11], v[6:7]
	;; [unrolled: 1-line block ×23, first 2 shown]
	v_lshl_add_u32 v4, v100, 8, v172
	ds_write_b128 v4, v[34:37]
	ds_write_b128 v4, v[30:33] offset:16
	ds_write_b128 v4, v[26:29] offset:32
	;; [unrolled: 1-line block ×16, first 2 shown]
.LBB0_19:
	s_or_b32 exec_lo, exec_lo, s33
	v_add_nc_u16 v106, v100, 0x77
	v_and_b32_e32 v4, 0xff, v100
	v_add_nc_u32_e32 v111, 0x165, v100
	v_mov_b32_e32 v8, 0xf0f1
	v_add_nc_u32_e32 v101, 0xee, v100
	v_and_b32_e32 v107, 0xff, v106
	v_mul_lo_u16 v135, 0xf1, v4
	v_add_nc_u32_e32 v108, 0x1dc, v100
	v_mul_u32_u24_sdwa v127, v111, v8 dst_sel:DWORD dst_unused:UNUSED_PAD src0_sel:WORD_0 src1_sel:DWORD
	v_mul_u32_u24_sdwa v104, v101, v8 dst_sel:DWORD dst_unused:UNUSED_PAD src0_sel:WORD_0 src1_sel:DWORD
	v_mul_lo_u16 v115, 0xf1, v107
	v_add_nc_u32_e32 v109, 0x253, v100
	v_lshrrev_b16 v117, 12, v135
	v_add_nc_u32_e32 v110, 0x2ca, v100
	v_mul_u32_u24_sdwa v128, v108, v8 dst_sel:DWORD dst_unused:UNUSED_PAD src0_sel:WORD_0 src1_sel:DWORD
	v_lshrrev_b16 v114, 12, v115
	v_lshrrev_b32_e32 v125, 20, v127
	v_add_nc_u32_e32 v112, 0x341, v100
	v_lshrrev_b32_e32 v118, 20, v104
	v_mul_lo_u16 v4, v117, 17
	v_mul_u32_u24_sdwa v129, v109, v8 dst_sel:DWORD dst_unused:UNUSED_PAD src0_sel:WORD_0 src1_sel:DWORD
	v_mul_lo_u16 v5, v114, 17
	v_mul_u32_u24_sdwa v130, v110, v8 dst_sel:DWORD dst_unused:UNUSED_PAD src0_sel:WORD_0 src1_sel:DWORD
	v_mul_lo_u16 v9, v125, 17
	v_lshrrev_b32_e32 v126, 20, v128
	v_mul_lo_u16 v6, v118, 17
	v_mul_u32_u24_sdwa v134, v112, v8 dst_sel:DWORD dst_unused:UNUSED_PAD src0_sel:WORD_0 src1_sel:DWORD
	v_mov_b32_e32 v105, 4
	v_sub_nc_u16 v4, v100, v4
	v_lshrrev_b32_e32 v131, 20, v129
	v_sub_nc_u16 v5, v106, v5
	v_lshrrev_b32_e32 v132, 20, v130
	v_sub_nc_u16 v8, v111, v9
	v_mul_lo_u16 v9, v126, 17
	v_sub_nc_u16 v6, v101, v6
	v_lshrrev_b32_e32 v133, 20, v134
	v_lshlrev_b32_sdwa v116, v105, v4 dst_sel:DWORD dst_unused:UNUSED_PAD src0_sel:DWORD src1_sel:BYTE_0
	v_mul_lo_u16 v10, v131, 17
	v_lshlrev_b32_sdwa v113, v105, v5 dst_sel:DWORD dst_unused:UNUSED_PAD src0_sel:DWORD src1_sel:BYTE_0
	v_mul_lo_u16 v11, v132, 17
	v_lshlrev_b32_sdwa v122, v105, v8 dst_sel:DWORD dst_unused:UNUSED_PAD src0_sel:DWORD src1_sel:WORD_0
	v_sub_nc_u16 v8, v108, v9
	v_lshlrev_b32_sdwa v119, v105, v6 dst_sel:DWORD dst_unused:UNUSED_PAD src0_sel:DWORD src1_sel:WORD_0
	v_mul_lo_u16 v9, v133, 17
	s_waitcnt lgkmcnt(0)
	s_barrier
	buffer_gl0_inv
	s_clause 0x1
	global_load_dwordx4 v[24:27], v116, s[8:9]
	global_load_dwordx4 v[4:7], v113, s[8:9]
	v_sub_nc_u16 v10, v109, v10
	v_sub_nc_u16 v11, v110, v11
	v_lshlrev_b32_sdwa v123, v105, v8 dst_sel:DWORD dst_unused:UNUSED_PAD src0_sel:DWORD src1_sel:WORD_0
	s_clause 0x1
	global_load_dwordx4 v[44:47], v119, s[8:9]
	global_load_dwordx4 v[56:59], v122, s[8:9]
	v_sub_nc_u16 v8, v112, v9
	v_lshlrev_b32_sdwa v124, v105, v10 dst_sel:DWORD dst_unused:UNUSED_PAD src0_sel:DWORD src1_sel:WORD_0
	v_lshlrev_b32_sdwa v120, v105, v11 dst_sel:DWORD dst_unused:UNUSED_PAD src0_sel:DWORD src1_sel:WORD_0
	global_load_dwordx4 v[60:63], v123, s[8:9]
	v_mov_b32_e32 v139, 0x220
	v_lshlrev_b32_sdwa v121, v105, v8 dst_sel:DWORD dst_unused:UNUSED_PAD src0_sel:DWORD src1_sel:WORD_0
	s_clause 0x2
	global_load_dwordx4 v[64:67], v124, s[8:9]
	global_load_dwordx4 v[52:55], v120, s[8:9]
	;; [unrolled: 1-line block ×3, first 2 shown]
	ds_read_b128 v[28:31], v172
	ds_read_b128 v[8:11], v172 offset:1904
	ds_read_b128 v[84:87], v172 offset:15232
	;; [unrolled: 1-line block ×15, first 2 shown]
	v_mul_u32_u24_sdwa v147, v117, v139 dst_sel:DWORD dst_unused:UNUSED_PAD src0_sel:WORD_0 src1_sel:DWORD
	v_mul_u32_u24_e32 v148, 0x220, v118
	v_lshrrev_b32_e32 v142, 21, v127
	v_lshrrev_b32_e32 v143, 21, v128
	v_mul_u32_u24_e32 v149, 0x220, v125
	v_mul_u32_u24_e32 v150, 0x220, v126
	v_lshrrev_b32_e32 v144, 21, v129
	v_lshrrev_b32_e32 v145, 21, v130
	v_mul_u32_u24_e32 v151, 0x220, v131
	v_mul_u32_u24_e32 v152, 0x220, v132
	v_lshrrev_b32_e32 v146, 21, v134
	v_mul_u32_u24_e32 v153, 0x220, v133
	v_lshrrev_b16 v140, 13, v135
	v_lshrrev_b16 v155, 13, v115
	v_lshrrev_b32_e32 v141, 21, v104
	v_mul_u32_u24_sdwa v114, v114, v139 dst_sel:DWORD dst_unused:UNUSED_PAD src0_sel:WORD_0 src1_sel:DWORD
	v_mul_lo_u16 v156, v142, 34
	v_mul_lo_u16 v154, v140, 34
	;; [unrolled: 1-line block ×5, first 2 shown]
	v_sub_nc_u16 v111, v111, v156
	v_sub_nc_u16 v139, v100, v154
	v_mul_lo_u16 v154, v155, 34
	v_sub_nc_u16 v115, v101, v115
	v_mul_lo_u16 v159, v145, 34
	v_mul_lo_u16 v160, v146, 34
	s_waitcnt vmcnt(0) lgkmcnt(0)
	s_barrier
	buffer_gl0_inv
	v_cmp_gt_u32_e64 s0, 34, v100
	v_mul_f64 v[117:118], v[86:87], v[26:27]
	v_mul_f64 v[26:27], v[84:85], v[26:27]
	;; [unrolled: 1-line block ×16, first 2 shown]
	v_fma_f64 v[84:85], v[84:85], v[24:25], v[117:118]
	v_fma_f64 v[24:25], v[86:87], v[24:25], -v[26:27]
	v_fma_f64 v[68:69], v[68:69], v[4:5], v[127:128]
	v_fma_f64 v[70:71], v[70:71], v[4:5], -v[6:7]
	v_lshlrev_b32_sdwa v117, v105, v139 dst_sel:DWORD dst_unused:UNUSED_PAD src0_sel:DWORD src1_sel:BYTE_0
	v_fma_f64 v[26:27], v[88:89], v[44:45], v[125:126]
	v_fma_f64 v[86:87], v[90:91], v[44:45], -v[46:47]
	v_fma_f64 v[72:73], v[72:73], v[56:57], v[129:130]
	v_fma_f64 v[56:57], v[74:75], v[56:57], -v[58:59]
	v_sub_nc_u16 v88, v106, v154
	v_fma_f64 v[58:59], v[92:93], v[60:61], v[131:132]
	v_fma_f64 v[60:61], v[94:95], v[60:61], -v[62:63]
	v_lshlrev_b32_sdwa v118, v105, v115 dst_sel:DWORD dst_unused:UNUSED_PAD src0_sel:DWORD src1_sel:WORD_0
	v_fma_f64 v[62:63], v[76:77], v[64:65], v[133:134]
	v_fma_f64 v[64:65], v[78:79], v[64:65], -v[66:67]
	v_fma_f64 v[66:67], v[96:97], v[52:53], v[135:136]
	v_fma_f64 v[74:75], v[98:99], v[52:53], -v[54:55]
	;; [unrolled: 2-line block ×3, first 2 shown]
	v_sub_nc_u16 v80, v108, v157
	v_sub_nc_u16 v81, v109, v158
	v_sub_nc_u16 v82, v110, v159
	v_add_f64 v[4:5], v[28:29], -v[84:85]
	v_add_f64 v[6:7], v[30:31], -v[24:25]
	;; [unrolled: 1-line block ×4, first 2 shown]
	v_add3_u32 v68, 0, v147, v116
	v_add_f64 v[24:25], v[32:33], -v[26:27]
	v_add_f64 v[26:27], v[34:35], -v[86:87]
	v_add_f64 v[48:49], v[12:13], -v[72:73]
	v_add_f64 v[50:51], v[14:15], -v[56:57]
	v_lshlrev_b32_sdwa v116, v105, v88 dst_sel:DWORD dst_unused:UNUSED_PAD src0_sel:DWORD src1_sel:BYTE_0
	v_add_f64 v[52:53], v[36:37], -v[58:59]
	v_add_f64 v[54:55], v[38:39], -v[60:61]
	v_add3_u32 v69, 0, v148, v119
	v_add_f64 v[56:57], v[16:17], -v[62:63]
	v_add_f64 v[58:59], v[18:19], -v[64:65]
	;; [unrolled: 1-line block ×6, first 2 shown]
	v_add3_u32 v75, 0, v114, v113
	v_add3_u32 v70, 0, v149, v122
	;; [unrolled: 1-line block ×3, first 2 shown]
	v_fma_f64 v[28:29], v[28:29], 2.0, -v[4:5]
	v_fma_f64 v[30:31], v[30:31], 2.0, -v[6:7]
	;; [unrolled: 1-line block ×4, first 2 shown]
	v_add3_u32 v72, 0, v151, v124
	v_fma_f64 v[32:33], v[32:33], 2.0, -v[24:25]
	v_fma_f64 v[34:35], v[34:35], 2.0, -v[26:27]
	;; [unrolled: 1-line block ×4, first 2 shown]
	v_add3_u32 v73, 0, v152, v120
	v_fma_f64 v[36:37], v[36:37], 2.0, -v[52:53]
	v_fma_f64 v[38:39], v[38:39], 2.0, -v[54:55]
	v_add3_u32 v74, 0, v153, v121
	v_fma_f64 v[16:17], v[16:17], 2.0, -v[56:57]
	v_fma_f64 v[18:19], v[18:19], 2.0, -v[58:59]
	;; [unrolled: 1-line block ×6, first 2 shown]
	ds_write_b128 v68, v[4:7] offset:272
	ds_write_b128 v68, v[28:31]
	ds_write_b128 v75, v[44:47] offset:272
	ds_write_b128 v75, v[8:11]
	ds_write_b128 v69, v[32:35]
	ds_write_b128 v69, v[24:27] offset:272
	ds_write_b128 v70, v[12:15]
	ds_write_b128 v70, v[48:51] offset:272
	;; [unrolled: 2-line block ×6, first 2 shown]
	s_waitcnt lgkmcnt(0)
	s_barrier
	buffer_gl0_inv
	s_clause 0x1
	global_load_dwordx4 v[4:7], v117, s[8:9] offset:272
	global_load_dwordx4 v[8:11], v116, s[8:9] offset:272
	v_lshlrev_b32_sdwa v119, v105, v111 dst_sel:DWORD dst_unused:UNUSED_PAD src0_sel:DWORD src1_sel:WORD_0
	v_lshlrev_b32_sdwa v120, v105, v80 dst_sel:DWORD dst_unused:UNUSED_PAD src0_sel:DWORD src1_sel:WORD_0
	v_sub_nc_u16 v83, v112, v160
	global_load_dwordx4 v[12:15], v118, s[8:9] offset:272
	v_lshlrev_b32_sdwa v121, v105, v81 dst_sel:DWORD dst_unused:UNUSED_PAD src0_sel:DWORD src1_sel:WORD_0
	global_load_dwordx4 v[16:19], v119, s[8:9] offset:272
	v_lshlrev_b32_sdwa v122, v105, v82 dst_sel:DWORD dst_unused:UNUSED_PAD src0_sel:DWORD src1_sel:WORD_0
	;; [unrolled: 2-line block ×3, first 2 shown]
	s_clause 0x2
	global_load_dwordx4 v[24:27], v121, s[8:9] offset:272
	global_load_dwordx4 v[28:31], v122, s[8:9] offset:272
	global_load_dwordx4 v[32:35], v123, s[8:9] offset:272
	ds_read_b128 v[36:39], v172 offset:15232
	ds_read_b128 v[40:43], v172 offset:17136
	;; [unrolled: 1-line block ×8, first 2 shown]
	ds_read_b128 v[68:71], v172
	ds_read_b128 v[72:75], v172 offset:1904
	ds_read_b128 v[76:79], v172 offset:3808
	;; [unrolled: 1-line block ×5, first 2 shown]
	v_mov_b32_e32 v124, 0x440
	v_mul_u32_u24_sdwa v125, v140, v124 dst_sel:DWORD dst_unused:UNUSED_PAD src0_sel:WORD_0 src1_sel:DWORD
	s_waitcnt vmcnt(7) lgkmcnt(13)
	v_mul_f64 v[92:93], v[38:39], v[6:7]
	v_mul_f64 v[6:7], v[36:37], v[6:7]
	s_waitcnt vmcnt(6) lgkmcnt(12)
	v_mul_f64 v[94:95], v[42:43], v[10:11]
	v_mul_f64 v[10:11], v[40:41], v[10:11]
	;; [unrolled: 3-line block ×8, first 2 shown]
	v_fma_f64 v[36:37], v[36:37], v[4:5], v[92:93]
	v_fma_f64 v[38:39], v[38:39], v[4:5], -v[6:7]
	v_fma_f64 v[40:41], v[40:41], v[8:9], v[94:95]
	v_fma_f64 v[8:9], v[42:43], v[8:9], -v[10:11]
	ds_read_b128 v[4:7], v172 offset:11424
	v_fma_f64 v[10:11], v[44:45], v[12:13], v[96:97]
	v_fma_f64 v[42:43], v[46:47], v[12:13], -v[14:15]
	ds_read_b128 v[12:15], v172 offset:13328
	v_fma_f64 v[44:45], v[48:49], v[16:17], v[98:99]
	v_fma_f64 v[46:47], v[50:51], v[16:17], -v[18:19]
	v_fma_f64 v[48:49], v[52:53], v[20:21], v[108:109]
	v_fma_f64 v[50:51], v[54:55], v[20:21], -v[22:23]
	;; [unrolled: 2-line block ×5, first 2 shown]
	v_mul_u32_u24_e32 v64, 0x440, v141
	v_mul_u32_u24_e32 v65, 0x440, v142
	;; [unrolled: 1-line block ×3, first 2 shown]
	v_mul_u32_u24_sdwa v95, v155, v124 dst_sel:DWORD dst_unused:UNUSED_PAD src0_sel:WORD_0 src1_sel:DWORD
	s_waitcnt lgkmcnt(7)
	v_add_f64 v[16:17], v[68:69], -v[36:37]
	v_add_f64 v[18:19], v[70:71], -v[38:39]
	s_waitcnt lgkmcnt(6)
	v_add_f64 v[20:21], v[72:73], -v[40:41]
	v_add_f64 v[22:23], v[74:75], -v[8:9]
	v_add3_u32 v97, 0, v64, v118
	s_waitcnt lgkmcnt(5)
	v_add_f64 v[24:25], v[76:77], -v[10:11]
	v_add_f64 v[26:27], v[78:79], -v[42:43]
	v_add3_u32 v98, 0, v65, v119
	s_waitcnt lgkmcnt(4)
	v_add_f64 v[28:29], v[80:81], -v[44:45]
	v_add_f64 v[30:31], v[82:83], -v[46:47]
	s_waitcnt lgkmcnt(3)
	v_add_f64 v[32:33], v[84:85], -v[48:49]
	v_add_f64 v[34:35], v[86:87], -v[50:51]
	;; [unrolled: 3-line block ×5, first 2 shown]
	v_add3_u32 v99, 0, v66, v120
	v_mul_u32_u24_e32 v92, 0x440, v144
	v_mul_u32_u24_e32 v93, 0x440, v145
	;; [unrolled: 1-line block ×3, first 2 shown]
	v_fma_f64 v[44:45], v[68:69], 2.0, -v[16:17]
	v_fma_f64 v[46:47], v[70:71], 2.0, -v[18:19]
	;; [unrolled: 1-line block ×4, first 2 shown]
	v_add3_u32 v96, 0, v125, v117
	v_fma_f64 v[52:53], v[76:77], 2.0, -v[24:25]
	v_fma_f64 v[54:55], v[78:79], 2.0, -v[26:27]
	;; [unrolled: 1-line block ×12, first 2 shown]
	v_add3_u32 v15, 0, v95, v116
	v_add3_u32 v12, 0, v92, v121
	;; [unrolled: 1-line block ×4, first 2 shown]
	s_barrier
	buffer_gl0_inv
	ds_write_b128 v96, v[16:19] offset:544
	ds_write_b128 v96, v[44:47]
	ds_write_b128 v15, v[48:51]
	ds_write_b128 v15, v[20:23] offset:544
	ds_write_b128 v97, v[52:55]
	ds_write_b128 v97, v[24:27] offset:544
	;; [unrolled: 2-line block ×7, first 2 shown]
	s_waitcnt lgkmcnt(0)
	s_barrier
	buffer_gl0_inv
	ds_read_b128 v[32:35], v172
	ds_read_b128 v[28:31], v172 offset:1904
	ds_read_b128 v[68:71], v172 offset:4352
	;; [unrolled: 1-line block ×13, first 2 shown]
                                        ; implicit-def: $vgpr26_vgpr27
                                        ; implicit-def: $vgpr22_vgpr23
                                        ; implicit-def: $vgpr18_vgpr19
                                        ; implicit-def: $vgpr14_vgpr15
	s_and_saveexec_b32 s1, s0
	s_cbranch_execz .LBB0_21
; %bb.20:
	ds_read_b128 v[4:7], v172 offset:3808
	ds_read_b128 v[8:11], v172 offset:8160
	;; [unrolled: 1-line block ×7, first 2 shown]
.LBB0_21:
	s_or_b32 exec_lo, exec_lo, s1
	v_add_nc_u32_e32 v84, 0xffffffbc, v100
	v_cmp_gt_u32_e64 s1, 0x44, v100
	v_mul_lo_u16 v85, 0x79, v107
	v_mov_b32_e32 v88, 0
	v_mov_b32_e32 v95, 6
	s_mov_b32 s12, 0x37e14327
	v_cndmask_b32_e64 v84, v84, v100, s1
	v_lshrrev_b16 v86, 13, v85
	s_mov_b32 s6, 0x36b3c0b5
	s_mov_b32 s16, 0xe976ee23
	;; [unrolled: 1-line block ×3, first 2 shown]
	v_mul_i32_i24_e32 v87, 6, v84
	v_mul_lo_u16 v85, 0x44, v86
	s_mov_b32 s13, 0x3fe948f6
	s_mov_b32 s7, 0x3fac98ee
	;; [unrolled: 1-line block ×3, first 2 shown]
	v_lshlrev_b64 v[87:88], 4, v[87:88]
	v_sub_nc_u16 v85, v106, v85
	s_mov_b32 s5, 0xbfebfeb5
	s_mov_b32 s10, 0xaaaaaaaa
	s_mov_b32 s14, 0x5476071b
	s_mov_b32 s20, 0xb247c609
	v_add_co_u32 v114, s1, s8, v87
	v_add_co_ci_u32_e64 v115, s1, s9, v88, s1
	v_mul_u32_u24_sdwa v99, v85, v95 dst_sel:DWORD dst_unused:UNUSED_PAD src0_sel:BYTE_0 src1_sel:DWORD
	s_mov_b32 s11, 0xbff2aaaa
	s_clause 0x3
	global_load_dwordx4 v[87:90], v[114:115], off offset:816
	global_load_dwordx4 v[91:94], v[114:115], off offset:832
	;; [unrolled: 1-line block ×4, first 2 shown]
	v_lshlrev_b32_e32 v99, 4, v99
	s_clause 0x7
	global_load_dwordx4 v[110:113], v[114:115], off offset:880
	global_load_dwordx4 v[114:117], v[114:115], off offset:864
	global_load_dwordx4 v[118:121], v99, s[8:9] offset:816
	global_load_dwordx4 v[122:125], v99, s[8:9] offset:832
	;; [unrolled: 1-line block ×6, first 2 shown]
	s_mov_b32 s15, 0x3fe77f67
	s_mov_b32 s19, 0xbfe77f67
	;; [unrolled: 1-line block ×8, first 2 shown]
	v_cmp_lt_u32_e64 s1, 0x43, v100
	v_mov_b32_e32 v99, 0x1dc0
	v_lshlrev_b32_e32 v84, 4, v84
	v_lshlrev_b32_sdwa v85, v105, v85 dst_sel:DWORD dst_unused:UNUSED_PAD src0_sel:DWORD src1_sel:BYTE_0
	s_waitcnt vmcnt(0) lgkmcnt(0)
	s_barrier
	v_mul_u32_u24_sdwa v86, v86, v99 dst_sel:DWORD dst_unused:UNUSED_PAD src0_sel:WORD_0 src1_sel:DWORD
	buffer_gl0_inv
	v_add3_u32 v85, 0, v86, v85
	v_mul_f64 v[150:151], v[78:79], v[112:113]
	v_mul_f64 v[142:143], v[70:71], v[89:90]
	v_mul_f64 v[89:90], v[68:69], v[89:90]
	v_mul_f64 v[144:145], v[74:75], v[93:94]
	v_mul_f64 v[93:94], v[72:73], v[93:94]
	v_mul_f64 v[148:149], v[82:83], v[108:109]
	v_mul_f64 v[108:109], v[80:81], v[108:109]
	v_mul_f64 v[112:113], v[76:77], v[112:113]
	v_mul_f64 v[146:147], v[62:63], v[97:98]
	v_mul_f64 v[97:98], v[60:61], v[97:98]
	v_mul_f64 v[152:153], v[66:67], v[116:117]
	v_mul_f64 v[116:117], v[64:65], v[116:117]
	v_mul_f64 v[154:155], v[50:51], v[120:121]
	v_mul_f64 v[120:121], v[48:49], v[120:121]
	v_mul_f64 v[156:157], v[46:47], v[124:125]
	v_mul_f64 v[124:125], v[44:45], v[124:125]
	v_mul_f64 v[160:161], v[58:59], v[132:133]
	v_mul_f64 v[132:133], v[56:57], v[132:133]
	v_mul_f64 v[164:165], v[54:55], v[140:141]
	v_mul_f64 v[140:141], v[52:53], v[140:141]
	v_mul_f64 v[158:159], v[38:39], v[128:129]
	v_mul_f64 v[128:129], v[36:37], v[128:129]
	v_mul_f64 v[162:163], v[42:43], v[136:137]
	v_mul_f64 v[136:137], v[40:41], v[136:137]
	v_fma_f64 v[68:69], v[68:69], v[87:88], v[142:143]
	v_fma_f64 v[70:71], v[70:71], v[87:88], -v[89:90]
	v_fma_f64 v[72:73], v[72:73], v[91:92], v[144:145]
	v_fma_f64 v[74:75], v[74:75], v[91:92], -v[93:94]
	;; [unrolled: 2-line block ×12, first 2 shown]
	v_add_f64 v[87:88], v[68:69], v[80:81]
	v_add_f64 v[89:90], v[70:71], v[82:83]
	;; [unrolled: 1-line block ×4, first 2 shown]
	v_add_f64 v[68:69], v[68:69], -v[80:81]
	v_add_f64 v[70:71], v[70:71], -v[82:83]
	v_add_f64 v[80:81], v[60:61], v[64:65]
	v_add_f64 v[82:83], v[62:63], v[66:67]
	v_add_f64 v[60:61], v[64:65], -v[60:61]
	v_add_f64 v[62:63], v[66:67], -v[62:63]
	v_add_f64 v[64:65], v[48:49], v[56:57]
	v_add_f64 v[66:67], v[50:51], v[58:59]
	;; [unrolled: 4-line block ×3, first 2 shown]
	v_add_f64 v[72:73], v[72:73], -v[76:77]
	v_add_f64 v[74:75], v[74:75], -v[78:79]
	;; [unrolled: 1-line block ×4, first 2 shown]
	v_add_f64 v[52:53], v[36:37], v[40:41]
	v_add_f64 v[54:55], v[38:39], v[42:43]
	v_add_f64 v[36:37], v[40:41], -v[36:37]
	v_add_f64 v[38:39], v[42:43], -v[38:39]
	v_add_f64 v[40:41], v[91:92], v[87:88]
	v_add_f64 v[42:43], v[93:94], v[89:90]
	v_add_f64 v[76:77], v[91:92], -v[87:88]
	v_add_f64 v[78:79], v[93:94], -v[89:90]
	;; [unrolled: 1-line block ×6, first 2 shown]
	v_add_f64 v[110:111], v[56:57], v[64:65]
	v_add_f64 v[112:113], v[58:59], v[66:67]
	;; [unrolled: 1-line block ×4, first 2 shown]
	v_add_f64 v[106:107], v[60:61], -v[72:73]
	v_add_f64 v[108:109], v[62:63], -v[74:75]
	;; [unrolled: 1-line block ×6, first 2 shown]
	v_add_f64 v[40:41], v[80:81], v[40:41]
	v_add_f64 v[42:43], v[82:83], v[42:43]
	v_add_f64 v[64:65], v[64:65], -v[52:53]
	v_add_f64 v[66:67], v[66:67], -v[54:55]
	;; [unrolled: 1-line block ×4, first 2 shown]
	v_add_f64 v[118:119], v[36:37], v[44:45]
	v_add_f64 v[120:121], v[38:39], v[46:47]
	v_add_f64 v[122:123], v[36:37], -v[44:45]
	v_add_f64 v[124:125], v[38:39], -v[46:47]
	;; [unrolled: 1-line block ×4, first 2 shown]
	v_add_f64 v[52:53], v[52:53], v[110:111]
	v_add_f64 v[54:55], v[54:55], v[112:113]
	v_add_f64 v[60:61], v[68:69], -v[60:61]
	v_add_f64 v[62:63], v[70:71], -v[62:63]
	v_add_f64 v[68:69], v[95:96], v[68:69]
	v_add_f64 v[70:71], v[97:98], v[70:71]
	v_mul_f64 v[80:81], v[87:88], s[12:13]
	v_mul_f64 v[82:83], v[89:90], s[12:13]
	v_mul_f64 v[87:88], v[91:92], s[6:7]
	v_mul_f64 v[89:90], v[93:94], s[6:7]
	v_mul_f64 v[95:96], v[106:107], s[16:17]
	v_mul_f64 v[97:98], v[108:109], s[16:17]
	v_mul_f64 v[106:107], v[72:73], s[4:5]
	v_mul_f64 v[108:109], v[74:75], s[4:5]
	v_add_f64 v[32:33], v[32:33], v[40:41]
	v_add_f64 v[34:35], v[34:35], v[42:43]
	v_add_f64 v[36:37], v[48:49], -v[36:37]
	v_add_f64 v[38:39], v[50:51], -v[38:39]
	v_add_f64 v[48:49], v[118:119], v[48:49]
	v_add_f64 v[50:51], v[120:121], v[50:51]
	v_mul_f64 v[64:65], v[64:65], s[12:13]
	v_mul_f64 v[66:67], v[66:67], s[12:13]
	;; [unrolled: 1-line block ×4, first 2 shown]
	v_add_f64 v[28:29], v[28:29], v[52:53]
	v_add_f64 v[30:31], v[30:31], v[54:55]
	v_mul_f64 v[122:123], v[44:45], s[4:5]
	v_mul_f64 v[124:125], v[46:47], s[4:5]
	;; [unrolled: 1-line block ×4, first 2 shown]
	v_fma_f64 v[91:92], v[91:92], s[6:7], v[80:81]
	v_fma_f64 v[93:94], v[93:94], s[6:7], v[82:83]
	v_fma_f64 v[87:88], v[76:77], s[14:15], -v[87:88]
	v_fma_f64 v[89:90], v[78:79], s[14:15], -v[89:90]
	;; [unrolled: 1-line block ×4, first 2 shown]
	v_fma_f64 v[80:81], v[60:61], s[20:21], v[95:96]
	v_fma_f64 v[82:83], v[62:63], s[20:21], v[97:98]
	v_fma_f64 v[72:73], v[72:73], s[4:5], -v[95:96]
	v_fma_f64 v[74:75], v[74:75], s[4:5], -v[97:98]
	;; [unrolled: 1-line block ×4, first 2 shown]
	v_fma_f64 v[40:41], v[40:41], s[10:11], v[32:33]
	v_fma_f64 v[42:43], v[42:43], s[10:11], v[34:35]
	;; [unrolled: 1-line block ×8, first 2 shown]
	v_fma_f64 v[36:37], v[36:37], s[24:25], -v[122:123]
	v_fma_f64 v[38:39], v[38:39], s[24:25], -v[124:125]
	;; [unrolled: 1-line block ×8, first 2 shown]
	v_fma_f64 v[80:81], v[68:69], s[22:23], v[80:81]
	v_fma_f64 v[82:83], v[70:71], s[22:23], v[82:83]
	;; [unrolled: 1-line block ×6, first 2 shown]
	v_add_f64 v[68:69], v[91:92], v[40:41]
	v_add_f64 v[70:71], v[93:94], v[42:43]
	;; [unrolled: 1-line block ×6, first 2 shown]
	v_fma_f64 v[91:92], v[48:49], s[22:23], v[106:107]
	v_fma_f64 v[93:94], v[50:51], s[22:23], v[108:109]
	v_add_f64 v[114:115], v[56:57], v[52:53]
	v_add_f64 v[116:117], v[58:59], v[54:55]
	v_fma_f64 v[110:111], v[48:49], s[22:23], v[36:37]
	v_fma_f64 v[112:113], v[50:51], s[22:23], v[38:39]
	v_add_f64 v[118:119], v[64:65], v[52:53]
	v_add_f64 v[120:121], v[66:67], v[54:55]
	;; [unrolled: 4-line block ×3, first 2 shown]
	v_cndmask_b32_e64 v122, 0, 0x1dc0, s1
	v_add_f64 v[36:37], v[82:83], v[68:69]
	v_add_f64 v[38:39], v[70:71], -v[80:81]
	v_add_f64 v[40:41], v[62:63], v[76:77]
	v_add_f64 v[42:43], v[78:79], -v[60:61]
	v_add_f64 v[44:45], v[87:88], -v[74:75]
	v_add_f64 v[46:47], v[72:73], v[89:90]
	v_add_f64 v[48:49], v[74:75], v[87:88]
	v_add_f64 v[50:51], v[89:90], -v[72:73]
	v_add_f64 v[52:53], v[76:77], -v[62:63]
	v_add_f64 v[54:55], v[60:61], v[78:79]
	v_add_f64 v[56:57], v[68:69], -v[82:83]
	v_add_f64 v[58:59], v[80:81], v[70:71]
	v_add_f64 v[60:61], v[93:94], v[114:115]
	v_add_f64 v[62:63], v[116:117], -v[91:92]
	v_add_f64 v[64:65], v[112:113], v[118:119]
	v_add_f64 v[66:67], v[120:121], -v[110:111]
	v_add_f64 v[68:69], v[95:96], -v[108:109]
	v_add_f64 v[70:71], v[106:107], v[97:98]
	v_add_f64 v[72:73], v[108:109], v[95:96]
	v_add_f64 v[74:75], v[97:98], -v[106:107]
	v_add_f64 v[76:77], v[118:119], -v[112:113]
	v_add_f64 v[78:79], v[110:111], v[120:121]
	v_add_f64 v[80:81], v[114:115], -v[93:94]
	v_add_f64 v[82:83], v[91:92], v[116:117]
	v_add3_u32 v84, 0, v122, v84
	ds_write_b128 v84, v[32:35]
	ds_write_b128 v84, v[36:39] offset:1088
	ds_write_b128 v84, v[40:43] offset:2176
	;; [unrolled: 1-line block ×6, first 2 shown]
	ds_write_b128 v85, v[28:31]
	ds_write_b128 v85, v[60:63] offset:1088
	ds_write_b128 v85, v[64:67] offset:2176
	;; [unrolled: 1-line block ×6, first 2 shown]
	s_and_saveexec_b32 s1, s0
	s_cbranch_execz .LBB0_23
; %bb.22:
	v_lshrrev_b32_e32 v28, 22, v104
	v_mul_lo_u16 v28, 0x44, v28
	v_sub_nc_u16 v28, v101, v28
	v_and_b32_e32 v64, 0xffff, v28
	v_mul_u32_u24_e32 v28, 6, v64
	v_lshlrev_b32_e32 v48, 4, v28
	s_clause 0x5
	global_load_dwordx4 v[28:31], v48, s[8:9] offset:832
	global_load_dwordx4 v[32:35], v48, s[8:9] offset:880
	;; [unrolled: 1-line block ×6, first 2 shown]
	s_waitcnt vmcnt(5)
	v_mul_f64 v[52:53], v[0:1], v[30:31]
	s_waitcnt vmcnt(4)
	v_mul_f64 v[54:55], v[20:21], v[34:35]
	;; [unrolled: 2-line block ×4, first 2 shown]
	v_mul_f64 v[30:31], v[2:3], v[30:31]
	v_mul_f64 v[34:35], v[22:23], v[34:35]
	;; [unrolled: 1-line block ×4, first 2 shown]
	s_waitcnt vmcnt(1)
	v_mul_f64 v[60:61], v[18:19], v[46:47]
	s_waitcnt vmcnt(0)
	v_mul_f64 v[62:63], v[14:15], v[50:51]
	v_mul_f64 v[50:51], v[12:13], v[50:51]
	;; [unrolled: 1-line block ×3, first 2 shown]
	v_fma_f64 v[2:3], v[2:3], v[28:29], -v[52:53]
	v_fma_f64 v[22:23], v[22:23], v[32:33], -v[54:55]
	v_fma_f64 v[10:11], v[10:11], v[36:37], -v[56:57]
	v_fma_f64 v[26:27], v[26:27], v[40:41], -v[58:59]
	v_fma_f64 v[0:1], v[0:1], v[28:29], v[30:31]
	v_fma_f64 v[20:21], v[20:21], v[32:33], v[34:35]
	;; [unrolled: 1-line block ×6, first 2 shown]
	v_fma_f64 v[14:15], v[14:15], v[48:49], -v[50:51]
	v_fma_f64 v[18:19], v[18:19], v[44:45], -v[46:47]
	v_add_f64 v[28:29], v[2:3], v[22:23]
	v_add_f64 v[2:3], v[2:3], -v[22:23]
	v_add_f64 v[30:31], v[10:11], v[26:27]
	v_add_f64 v[10:11], v[10:11], -v[26:27]
	;; [unrolled: 2-line block ×4, first 2 shown]
	v_add_f64 v[36:37], v[16:17], -v[12:13]
	v_add_f64 v[12:13], v[12:13], v[16:17]
	v_add_f64 v[20:21], v[14:15], v[18:19]
	v_add_f64 v[14:15], v[18:19], -v[14:15]
	v_add_f64 v[16:17], v[28:29], v[30:31]
	v_add_f64 v[42:43], v[2:3], -v[10:11]
	v_add_f64 v[18:19], v[32:33], v[34:35]
	v_add_f64 v[38:39], v[0:1], -v[8:9]
	v_add_f64 v[22:23], v[36:37], -v[0:1]
	v_add_f64 v[26:27], v[34:35], -v[12:13]
	;; [unrolled: 1-line block ×4, first 2 shown]
	v_add_f64 v[44:45], v[36:37], v[0:1]
	v_add_f64 v[36:37], v[8:9], -v[36:37]
	v_add_f64 v[46:47], v[14:15], v[2:3]
	v_add_f64 v[14:15], v[10:11], -v[14:15]
	;; [unrolled: 2-line block ×4, first 2 shown]
	v_mul_f64 v[22:23], v[22:23], s[16:17]
	v_mul_f64 v[26:27], v[26:27], s[12:13]
	v_mul_f64 v[24:25], v[24:25], s[12:13]
	v_mul_f64 v[48:49], v[38:39], s[4:5]
	v_add_f64 v[8:9], v[44:45], v[8:9]
	v_add_f64 v[10:11], v[46:47], v[10:11]
	;; [unrolled: 1-line block ×3, first 2 shown]
	v_add_f64 v[6:7], v[28:29], -v[30:31]
	v_mul_f64 v[28:29], v[20:21], s[6:7]
	v_mul_f64 v[30:31], v[40:41], s[16:17]
	v_add_f64 v[0:1], v[4:5], v[18:19]
	v_mul_f64 v[40:41], v[42:43], s[4:5]
	v_add_f64 v[4:5], v[32:33], -v[34:35]
	v_mul_f64 v[32:33], v[12:13], s[6:7]
	v_fma_f64 v[34:35], v[36:37], s[20:21], v[22:23]
	v_fma_f64 v[20:21], v[20:21], s[6:7], v[24:25]
	v_fma_f64 v[12:13], v[12:13], s[6:7], v[26:27]
	v_fma_f64 v[36:37], v[36:37], s[24:25], -v[48:49]
	v_fma_f64 v[22:23], v[38:39], s[4:5], -v[22:23]
	v_fma_f64 v[16:17], v[16:17], s[10:11], v[2:3]
	v_fma_f64 v[24:25], v[6:7], s[18:19], -v[24:25]
	v_fma_f64 v[6:7], v[6:7], s[14:15], -v[28:29]
	v_fma_f64 v[28:29], v[14:15], s[20:21], v[30:31]
	v_fma_f64 v[18:19], v[18:19], s[10:11], v[0:1]
	v_fma_f64 v[14:15], v[14:15], s[24:25], -v[40:41]
	v_fma_f64 v[26:27], v[4:5], s[18:19], -v[26:27]
	;; [unrolled: 1-line block ×4, first 2 shown]
	v_fma_f64 v[32:33], v[8:9], s[22:23], v[34:35]
	v_fma_f64 v[34:35], v[8:9], s[22:23], v[36:37]
	;; [unrolled: 1-line block ×3, first 2 shown]
	v_add_f64 v[20:21], v[20:21], v[16:17]
	v_add_f64 v[22:23], v[24:25], v[16:17]
	;; [unrolled: 1-line block ×3, first 2 shown]
	v_fma_f64 v[28:29], v[10:11], s[22:23], v[28:29]
	v_add_f64 v[38:39], v[12:13], v[18:19]
	v_fma_f64 v[36:37], v[10:11], s[22:23], v[14:15]
	v_add_f64 v[40:41], v[26:27], v[18:19]
	;; [unrolled: 2-line block ×3, first 2 shown]
	v_add_f64 v[26:27], v[20:21], -v[32:33]
	v_add_f64 v[6:7], v[32:33], v[20:21]
	v_add_f64 v[10:11], v[34:35], v[22:23]
	v_add_f64 v[22:23], v[22:23], -v[34:35]
	v_add_f64 v[24:25], v[28:29], v[38:39]
	v_add_f64 v[14:15], v[16:17], -v[8:9]
	v_add_f64 v[20:21], v[36:37], v[40:41]
	v_add_f64 v[18:19], v[8:9], v[16:17]
	v_add_f64 v[16:17], v[4:5], -v[30:31]
	v_add_f64 v[12:13], v[30:31], v[4:5]
	v_add_f64 v[8:9], v[40:41], -v[36:37]
	v_add_f64 v[4:5], v[38:39], -v[28:29]
	v_lshl_add_u32 v28, v64, 4, 0
	ds_write_b128 v28, v[0:3] offset:22848
	ds_write_b128 v28, v[24:27] offset:23936
	ds_write_b128 v28, v[20:23] offset:25024
	ds_write_b128 v28, v[16:19] offset:26112
	ds_write_b128 v28, v[12:15] offset:27200
	ds_write_b128 v28, v[8:11] offset:28288
	ds_write_b128 v28, v[4:7] offset:29376
.LBB0_23:
	s_or_b32 exec_lo, exec_lo, s1
	v_mul_u32_u24_e32 v0, 3, v100
	s_waitcnt lgkmcnt(0)
	s_barrier
	buffer_gl0_inv
	v_lshlrev_b32_e32 v0, 4, v0
	v_add_co_u32 v34, s0, s8, v0
	v_add_co_ci_u32_e64 v35, null, s9, 0, s0
	v_add_co_u32 v0, s0, 0x1800, v34
	v_add_co_ci_u32_e64 v1, s0, 0, v35, s0
	v_add_co_u32 v8, s0, 0x1cb0, v34
	v_add_co_ci_u32_e64 v9, s0, 0, v35, s0
	;; [unrolled: 2-line block ×7, first 2 shown]
	v_add_co_u32 v44, s0, 0x5fa0, v34
	s_clause 0x2
	global_load_dwordx4 v[0:3], v[0:1], off offset:1200
	global_load_dwordx4 v[4:7], v[8:9], off offset:32
	global_load_dwordx4 v[8:11], v[8:9], off offset:16
	v_add_co_ci_u32_e64 v45, s0, 0, v35, s0
	s_clause 0x8
	global_load_dwordx4 v[12:15], v[12:13], off offset:768
	global_load_dwordx4 v[16:19], v[20:21], off offset:32
	;; [unrolled: 1-line block ×9, first 2 shown]
	ds_read_b128 v[48:51], v172 offset:7616
	ds_read_b128 v[52:55], v172 offset:15232
	;; [unrolled: 1-line block ×6, first 2 shown]
	ds_read_b128 v[72:75], v172
	ds_read_b128 v[76:79], v172 offset:1904
	ds_read_b128 v[80:83], v172 offset:11424
	;; [unrolled: 1-line block ×9, first 2 shown]
	s_waitcnt vmcnt(0) lgkmcnt(0)
	s_barrier
	buffer_gl0_inv
	v_mul_f64 v[116:117], v[50:51], v[2:3]
	v_mul_f64 v[2:3], v[48:49], v[2:3]
	;; [unrolled: 1-line block ×24, first 2 shown]
	v_fma_f64 v[48:49], v[48:49], v[0:1], v[116:117]
	v_fma_f64 v[0:1], v[50:51], v[0:1], -v[2:3]
	v_fma_f64 v[2:3], v[52:53], v[8:9], v[118:119]
	v_fma_f64 v[8:9], v[54:55], v[8:9], -v[10:11]
	;; [unrolled: 2-line block ×12, first 2 shown]
	v_add_f64 v[46:47], v[72:73], -v[2:3]
	v_add_f64 v[50:51], v[74:75], -v[8:9]
	;; [unrolled: 1-line block ×16, first 2 shown]
	v_fma_f64 v[64:65], v[72:73], 2.0, -v[46:47]
	v_fma_f64 v[66:67], v[74:75], 2.0, -v[50:51]
	v_fma_f64 v[26:27], v[48:49], 2.0, -v[2:3]
	v_fma_f64 v[28:29], v[0:1], 2.0, -v[4:5]
	v_add_f64 v[0:1], v[46:47], v[4:5]
	v_add_f64 v[2:3], v[50:51], -v[2:3]
	v_fma_f64 v[68:69], v[76:77], 2.0, -v[52:53]
	v_fma_f64 v[70:71], v[78:79], 2.0, -v[54:55]
	v_fma_f64 v[30:31], v[6:7], 2.0, -v[8:9]
	v_fma_f64 v[32:33], v[12:13], 2.0, -v[10:11]
	v_add_f64 v[4:5], v[52:53], v[10:11]
	v_add_f64 v[6:7], v[54:55], -v[8:9]
	;; [unrolled: 6-line block ×4, first 2 shown]
	v_add_f64 v[16:17], v[64:65], -v[26:27]
	v_add_f64 v[18:19], v[66:67], -v[28:29]
	;; [unrolled: 1-line block ×4, first 2 shown]
	v_fma_f64 v[32:33], v[46:47], 2.0, -v[0:1]
	v_add_f64 v[24:25], v[72:73], -v[38:39]
	v_add_f64 v[26:27], v[74:75], -v[40:41]
	v_fma_f64 v[38:39], v[54:55], 2.0, -v[6:7]
	v_fma_f64 v[40:41], v[56:57], 2.0, -v[8:9]
	;; [unrolled: 1-line block ×3, first 2 shown]
	v_add_f64 v[28:29], v[76:77], -v[34:35]
	v_add_f64 v[30:31], v[78:79], -v[36:37]
	v_fma_f64 v[34:35], v[50:51], 2.0, -v[2:3]
	v_fma_f64 v[36:37], v[52:53], 2.0, -v[4:5]
	;; [unrolled: 1-line block ×12, first 2 shown]
	ds_write_b128 v172, v[0:3] offset:22848
	ds_write_b128 v172, v[4:7] offset:24752
	;; [unrolled: 1-line block ×12, first 2 shown]
	ds_write_b128 v172, v[48:51]
	ds_write_b128 v172, v[52:55] offset:1904
	ds_write_b128 v172, v[56:59] offset:3808
	ds_write_b128 v172, v[60:63] offset:5712
	s_waitcnt lgkmcnt(0)
	s_barrier
	buffer_gl0_inv
	s_and_saveexec_b32 s0, vcc_lo
	s_cbranch_execz .LBB0_25
; %bb.24:
	v_lshl_add_u32 v30, v100, 4, 0
	v_mov_b32_e32 v101, 0
	v_add_co_u32 v31, vcc_lo, s2, v102
	v_add_nc_u32_e32 v8, 0x77, v100
	ds_read_b128 v[0:3], v30
	ds_read_b128 v[4:7], v30 offset:1904
	v_lshlrev_b64 v[10:11], 4, v[100:101]
	v_mov_b32_e32 v9, v101
	v_add_co_ci_u32_e32 v32, vcc_lo, s3, v103, vcc_lo
	v_add_nc_u32_e32 v16, 0xee, v100
	v_mov_b32_e32 v17, v101
	v_add_co_u32 v20, vcc_lo, v31, v10
	v_lshlrev_b64 v[22:23], 4, v[8:9]
	v_add_nc_u32_e32 v18, 0x165, v100
	v_mov_b32_e32 v19, v101
	v_add_co_ci_u32_e32 v21, vcc_lo, v32, v11, vcc_lo
	ds_read_b128 v[8:11], v30 offset:3808
	ds_read_b128 v[12:15], v30 offset:5712
	v_lshlrev_b64 v[16:17], 4, v[16:17]
	v_lshlrev_b64 v[18:19], 4, v[18:19]
	v_add_nc_u32_e32 v24, 0x1dc, v100
	v_mov_b32_e32 v25, v101
	s_waitcnt lgkmcnt(3)
	global_store_dwordx4 v[20:21], v[0:3], off
	v_add_co_u32 v20, vcc_lo, v31, v22
	v_add_co_ci_u32_e32 v21, vcc_lo, v32, v23, vcc_lo
	v_add_co_u32 v22, vcc_lo, v31, v16
	v_add_co_ci_u32_e32 v23, vcc_lo, v32, v17, vcc_lo
	v_add_co_u32 v26, vcc_lo, v31, v18
	ds_read_b128 v[0:3], v30 offset:7616
	v_add_co_ci_u32_e32 v27, vcc_lo, v32, v19, vcc_lo
	ds_read_b128 v[16:19], v30 offset:9520
	v_add_nc_u32_e32 v28, 0x253, v100
	v_mov_b32_e32 v29, v101
	v_lshlrev_b64 v[24:25], 4, v[24:25]
	s_waitcnt lgkmcnt(4)
	global_store_dwordx4 v[20:21], v[4:7], off
	s_waitcnt lgkmcnt(3)
	global_store_dwordx4 v[22:23], v[8:11], off
	;; [unrolled: 2-line block ×3, first 2 shown]
	v_add_nc_u32_e32 v8, 0x2ca, v100
	v_mov_b32_e32 v9, v101
	v_lshlrev_b64 v[4:5], 4, v[28:29]
	v_add_nc_u32_e32 v10, 0x341, v100
	v_add_co_u32 v6, vcc_lo, v31, v24
	v_add_co_ci_u32_e32 v7, vcc_lo, v32, v25, vcc_lo
	v_add_co_u32 v4, vcc_lo, v31, v4
	v_add_co_ci_u32_e32 v5, vcc_lo, v32, v5, vcc_lo
	v_mov_b32_e32 v11, v101
	s_waitcnt lgkmcnt(1)
	global_store_dwordx4 v[6:7], v[0:3], off
	v_lshlrev_b64 v[12:13], 4, v[8:9]
	s_waitcnt lgkmcnt(0)
	global_store_dwordx4 v[4:5], v[16:19], off
	ds_read_b128 v[0:3], v30 offset:11424
	ds_read_b128 v[4:7], v30 offset:13328
	v_lshlrev_b64 v[14:15], 4, v[10:11]
	ds_read_b128 v[8:11], v30 offset:15232
	v_add_nc_u32_e32 v16, 0x3b8, v100
	v_mov_b32_e32 v17, v101
	v_add_co_u32 v20, vcc_lo, v31, v12
	v_add_co_ci_u32_e32 v21, vcc_lo, v32, v13, vcc_lo
	v_lshlrev_b64 v[12:13], 4, v[16:17]
	v_add_nc_u32_e32 v16, 0x42f, v100
	v_add_co_u32 v22, vcc_lo, v31, v14
	v_add_co_ci_u32_e32 v23, vcc_lo, v32, v15, vcc_lo
	v_lshlrev_b64 v[26:27], 4, v[16:17]
	ds_read_b128 v[16:19], v30 offset:19040
	v_add_co_u32 v24, vcc_lo, v31, v12
	v_add_nc_u32_e32 v28, 0x4a6, v100
	v_add_co_ci_u32_e32 v25, vcc_lo, v32, v13, vcc_lo
	ds_read_b128 v[12:15], v30 offset:17136
	s_waitcnt lgkmcnt(4)
	global_store_dwordx4 v[20:21], v[0:3], off
	s_waitcnt lgkmcnt(3)
	global_store_dwordx4 v[22:23], v[4:7], off
	;; [unrolled: 2-line block ×3, first 2 shown]
	v_lshlrev_b64 v[0:1], 4, v[28:29]
	v_add_co_u32 v2, vcc_lo, v31, v26
	v_add_co_ci_u32_e32 v3, vcc_lo, v32, v27, vcc_lo
	v_add_nc_u32_e32 v4, 0x51d, v100
	v_mov_b32_e32 v5, v101
	v_add_co_u32 v6, vcc_lo, v31, v0
	v_add_co_ci_u32_e32 v7, vcc_lo, v32, v1, vcc_lo
	v_add_nc_u32_e32 v8, 0x594, v100
	v_mov_b32_e32 v9, v101
	v_lshlrev_b64 v[4:5], 4, v[4:5]
	s_waitcnt lgkmcnt(1)
	global_store_dwordx4 v[6:7], v[16:19], off
	v_add_nc_u32_e32 v24, 0x682, v100
	v_mov_b32_e32 v25, v101
	v_lshlrev_b64 v[6:7], 4, v[8:9]
	s_waitcnt lgkmcnt(0)
	global_store_dwordx4 v[2:3], v[12:15], off
	v_add_co_u32 v20, vcc_lo, v31, v4
	v_add_nc_u32_e32 v12, 0x60b, v100
	v_mov_b32_e32 v13, v101
	v_add_co_ci_u32_e32 v21, vcc_lo, v32, v5, vcc_lo
	v_add_co_u32 v22, vcc_lo, v31, v6
	ds_read_b128 v[0:3], v30 offset:20944
	v_add_co_ci_u32_e32 v23, vcc_lo, v32, v7, vcc_lo
	ds_read_b128 v[4:7], v30 offset:22848
	ds_read_b128 v[8:11], v30 offset:24752
	v_lshlrev_b64 v[26:27], 4, v[12:13]
	ds_read_b128 v[12:15], v30 offset:26656
	ds_read_b128 v[16:19], v30 offset:28560
	v_add_nc_u32_e32 v100, 0x6f9, v100
	v_lshlrev_b64 v[24:25], 4, v[24:25]
	v_add_co_u32 v26, vcc_lo, v31, v26
	v_lshlrev_b64 v[28:29], 4, v[100:101]
	v_add_co_ci_u32_e32 v27, vcc_lo, v32, v27, vcc_lo
	v_add_co_u32 v24, vcc_lo, v31, v24
	v_add_co_ci_u32_e32 v25, vcc_lo, v32, v25, vcc_lo
	v_add_co_u32 v28, vcc_lo, v31, v28
	v_add_co_ci_u32_e32 v29, vcc_lo, v32, v29, vcc_lo
	s_waitcnt lgkmcnt(4)
	global_store_dwordx4 v[20:21], v[0:3], off
	s_waitcnt lgkmcnt(3)
	global_store_dwordx4 v[22:23], v[4:7], off
	;; [unrolled: 2-line block ×5, first 2 shown]
.LBB0_25:
	s_endpgm
	.section	.rodata,"a",@progbits
	.p2align	6, 0x0
	.amdhsa_kernel fft_rtc_back_len1904_factors_17_2_2_7_4_wgs_119_tpt_119_halfLds_dp_ip_CI_unitstride_sbrr_C2R_dirReg
		.amdhsa_group_segment_fixed_size 0
		.amdhsa_private_segment_fixed_size 0
		.amdhsa_kernarg_size 88
		.amdhsa_user_sgpr_count 6
		.amdhsa_user_sgpr_private_segment_buffer 1
		.amdhsa_user_sgpr_dispatch_ptr 0
		.amdhsa_user_sgpr_queue_ptr 0
		.amdhsa_user_sgpr_kernarg_segment_ptr 1
		.amdhsa_user_sgpr_dispatch_id 0
		.amdhsa_user_sgpr_flat_scratch_init 0
		.amdhsa_user_sgpr_private_segment_size 0
		.amdhsa_wavefront_size32 1
		.amdhsa_uses_dynamic_stack 0
		.amdhsa_system_sgpr_private_segment_wavefront_offset 0
		.amdhsa_system_sgpr_workgroup_id_x 1
		.amdhsa_system_sgpr_workgroup_id_y 0
		.amdhsa_system_sgpr_workgroup_id_z 0
		.amdhsa_system_sgpr_workgroup_info 0
		.amdhsa_system_vgpr_workitem_id 0
		.amdhsa_next_free_vgpr 233
		.amdhsa_next_free_sgpr 52
		.amdhsa_reserve_vcc 1
		.amdhsa_reserve_flat_scratch 0
		.amdhsa_float_round_mode_32 0
		.amdhsa_float_round_mode_16_64 0
		.amdhsa_float_denorm_mode_32 3
		.amdhsa_float_denorm_mode_16_64 3
		.amdhsa_dx10_clamp 1
		.amdhsa_ieee_mode 1
		.amdhsa_fp16_overflow 0
		.amdhsa_workgroup_processor_mode 1
		.amdhsa_memory_ordered 1
		.amdhsa_forward_progress 0
		.amdhsa_shared_vgpr_count 0
		.amdhsa_exception_fp_ieee_invalid_op 0
		.amdhsa_exception_fp_denorm_src 0
		.amdhsa_exception_fp_ieee_div_zero 0
		.amdhsa_exception_fp_ieee_overflow 0
		.amdhsa_exception_fp_ieee_underflow 0
		.amdhsa_exception_fp_ieee_inexact 0
		.amdhsa_exception_int_div_zero 0
	.end_amdhsa_kernel
	.text
.Lfunc_end0:
	.size	fft_rtc_back_len1904_factors_17_2_2_7_4_wgs_119_tpt_119_halfLds_dp_ip_CI_unitstride_sbrr_C2R_dirReg, .Lfunc_end0-fft_rtc_back_len1904_factors_17_2_2_7_4_wgs_119_tpt_119_halfLds_dp_ip_CI_unitstride_sbrr_C2R_dirReg
                                        ; -- End function
	.section	.AMDGPU.csdata,"",@progbits
; Kernel info:
; codeLenInByte = 18324
; NumSgprs: 54
; NumVgprs: 233
; ScratchSize: 0
; MemoryBound: 0
; FloatMode: 240
; IeeeMode: 1
; LDSByteSize: 0 bytes/workgroup (compile time only)
; SGPRBlocks: 6
; VGPRBlocks: 29
; NumSGPRsForWavesPerEU: 54
; NumVGPRsForWavesPerEU: 233
; Occupancy: 4
; WaveLimiterHint : 1
; COMPUTE_PGM_RSRC2:SCRATCH_EN: 0
; COMPUTE_PGM_RSRC2:USER_SGPR: 6
; COMPUTE_PGM_RSRC2:TRAP_HANDLER: 0
; COMPUTE_PGM_RSRC2:TGID_X_EN: 1
; COMPUTE_PGM_RSRC2:TGID_Y_EN: 0
; COMPUTE_PGM_RSRC2:TGID_Z_EN: 0
; COMPUTE_PGM_RSRC2:TIDIG_COMP_CNT: 0
	.text
	.p2alignl 6, 3214868480
	.fill 48, 4, 3214868480
	.type	__hip_cuid_c3291a9ed6523f33,@object ; @__hip_cuid_c3291a9ed6523f33
	.section	.bss,"aw",@nobits
	.globl	__hip_cuid_c3291a9ed6523f33
__hip_cuid_c3291a9ed6523f33:
	.byte	0                               ; 0x0
	.size	__hip_cuid_c3291a9ed6523f33, 1

	.ident	"AMD clang version 19.0.0git (https://github.com/RadeonOpenCompute/llvm-project roc-6.4.0 25133 c7fe45cf4b819c5991fe208aaa96edf142730f1d)"
	.section	".note.GNU-stack","",@progbits
	.addrsig
	.addrsig_sym __hip_cuid_c3291a9ed6523f33
	.amdgpu_metadata
---
amdhsa.kernels:
  - .args:
      - .actual_access:  read_only
        .address_space:  global
        .offset:         0
        .size:           8
        .value_kind:     global_buffer
      - .offset:         8
        .size:           8
        .value_kind:     by_value
      - .actual_access:  read_only
        .address_space:  global
        .offset:         16
        .size:           8
        .value_kind:     global_buffer
      - .actual_access:  read_only
        .address_space:  global
        .offset:         24
        .size:           8
        .value_kind:     global_buffer
      - .offset:         32
        .size:           8
        .value_kind:     by_value
      - .actual_access:  read_only
        .address_space:  global
        .offset:         40
        .size:           8
        .value_kind:     global_buffer
      - .actual_access:  read_only
        .address_space:  global
        .offset:         48
        .size:           8
        .value_kind:     global_buffer
      - .offset:         56
        .size:           4
        .value_kind:     by_value
      - .actual_access:  read_only
        .address_space:  global
        .offset:         64
        .size:           8
        .value_kind:     global_buffer
      - .actual_access:  read_only
        .address_space:  global
        .offset:         72
        .size:           8
        .value_kind:     global_buffer
      - .address_space:  global
        .offset:         80
        .size:           8
        .value_kind:     global_buffer
    .group_segment_fixed_size: 0
    .kernarg_segment_align: 8
    .kernarg_segment_size: 88
    .language:       OpenCL C
    .language_version:
      - 2
      - 0
    .max_flat_workgroup_size: 119
    .name:           fft_rtc_back_len1904_factors_17_2_2_7_4_wgs_119_tpt_119_halfLds_dp_ip_CI_unitstride_sbrr_C2R_dirReg
    .private_segment_fixed_size: 0
    .sgpr_count:     54
    .sgpr_spill_count: 0
    .symbol:         fft_rtc_back_len1904_factors_17_2_2_7_4_wgs_119_tpt_119_halfLds_dp_ip_CI_unitstride_sbrr_C2R_dirReg.kd
    .uniform_work_group_size: 1
    .uses_dynamic_stack: false
    .vgpr_count:     233
    .vgpr_spill_count: 0
    .wavefront_size: 32
    .workgroup_processor_mode: 1
amdhsa.target:   amdgcn-amd-amdhsa--gfx1030
amdhsa.version:
  - 1
  - 2
...

	.end_amdgpu_metadata
